;; amdgpu-corpus repo=ROCm/rocFFT kind=compiled arch=gfx1201 opt=O3
	.text
	.amdgcn_target "amdgcn-amd-amdhsa--gfx1201"
	.amdhsa_code_object_version 6
	.protected	bluestein_single_fwd_len2023_dim1_dp_op_CI_CI ; -- Begin function bluestein_single_fwd_len2023_dim1_dp_op_CI_CI
	.globl	bluestein_single_fwd_len2023_dim1_dp_op_CI_CI
	.p2align	8
	.type	bluestein_single_fwd_len2023_dim1_dp_op_CI_CI,@function
bluestein_single_fwd_len2023_dim1_dp_op_CI_CI: ; @bluestein_single_fwd_len2023_dim1_dp_op_CI_CI
; %bb.0:
	s_load_b128 s[16:19], s[0:1], 0x28
	v_mul_u32_u24_e32 v1, 0x227, v0
	s_mov_b32 s2, exec_lo
	v_mov_b32_e32 v5, 0
	s_delay_alu instid0(VALU_DEP_2) | instskip(NEXT) | instid1(VALU_DEP_1)
	v_lshrrev_b32_e32 v1, 16, v1
	v_add_nc_u32_e32 v4, ttmp9, v1
	s_wait_kmcnt 0x0
	s_delay_alu instid0(VALU_DEP_1)
	v_cmpx_gt_u64_e64 s[16:17], v[4:5]
	s_cbranch_execz .LBB0_10
; %bb.1:
	s_clause 0x1
	s_load_b128 s[4:7], s[0:1], 0x18
	s_load_b128 s[8:11], s[0:1], 0x0
	v_mul_lo_u16 v1, 0x77, v1
	s_mov_b32 s34, 0x5d8e7cdc
	s_mov_b32 s40, 0x2a9d6da3
	;; [unrolled: 1-line block ×4, first 2 shown]
	v_sub_nc_u16 v56, v0, v1
	s_mov_b32 s26, 0x923c349f
	s_mov_b32 s28, 0x6c9a05f6
	;; [unrolled: 1-line block ×4, first 2 shown]
	v_and_b32_e32 v65, 0xffff, v56
	v_mov_b32_e32 v5, v4
	s_mov_b32 s35, 0xbfd71e95
	s_mov_b32 s41, 0xbfe58eea
	;; [unrolled: 1-line block ×3, first 2 shown]
	v_lshlrev_b32_e32 v62, 4, v65
	scratch_store_b64 off, v[5:6], off offset:128 ; 8-byte Folded Spill
	s_mov_b32 s39, 0xbfefdd0d
	s_wait_kmcnt 0x0
	s_load_b128 s[12:15], s[4:5], 0x0
	s_mov_b32 s27, 0xbfeec746
	s_mov_b32 s29, 0xbfe9895b
	;; [unrolled: 1-line block ×19, first 2 shown]
	s_wait_kmcnt 0x0
	v_mad_co_u64_u32 v[0:1], null, s14, v4, 0
	v_mad_co_u64_u32 v[2:3], null, s12, v65, 0
	s_mul_u64 s[2:3], s[12:13], 0x770
	s_mov_b32 s46, s34
	s_mov_b32 s49, 0x3fc7851a
	s_mov_b32 s48, s36
	s_mov_b32 s53, 0x3fe9895b
	s_mov_b32 s52, s28
	s_delay_alu instid0(VALU_DEP_1) | instskip(SKIP_3) | instid1(VALU_DEP_1)
	v_mad_co_u64_u32 v[4:5], null, s15, v4, v[1:2]
	s_mov_b32 s14, 0x370991
	s_mov_b32 s15, 0x3fedd6d0
	s_load_b64 s[0:1], s[0:1], 0x38
	v_mad_co_u64_u32 v[5:6], null, s13, v65, v[3:4]
	v_mov_b32_e32 v1, v4
	s_mov_b32 s12, 0x3259b75e
	s_mov_b32 s13, 0x3fb79ee6
	s_delay_alu instid0(VALU_DEP_1) | instskip(NEXT) | instid1(VALU_DEP_3)
	v_lshlrev_b64_e32 v[0:1], 4, v[0:1]
	v_mov_b32_e32 v3, v5
	s_delay_alu instid0(VALU_DEP_2) | instskip(NEXT) | instid1(VALU_DEP_2)
	v_add_co_u32 v0, vcc_lo, s18, v0
	v_lshlrev_b64_e32 v[2:3], 4, v[2:3]
	s_delay_alu instid0(VALU_DEP_4) | instskip(SKIP_2) | instid1(VALU_DEP_2)
	v_add_co_ci_u32_e32 v1, vcc_lo, s19, v1, vcc_lo
	s_mov_b32 s18, 0xc61f0d01
	s_mov_b32 s19, 0xbfd183b1
	v_add_co_u32 v4, vcc_lo, v0, v2
	s_wait_alu 0xfffd
	v_add_co_ci_u32_e32 v5, vcc_lo, v1, v3, vcc_lo
	global_load_b128 v[22:25], v62, s[8:9]
	global_load_b128 v[0:3], v[4:5], off
	v_add_co_u32 v8, vcc_lo, v4, s2
	s_wait_alu 0xfffd
	v_add_co_ci_u32_e32 v9, vcc_lo, s3, v5, vcc_lo
	global_load_b128 v[26:29], v62, s[8:9] offset:1904
	global_load_b128 v[4:7], v[8:9], off
	v_add_co_u32 v12, vcc_lo, v8, s2
	s_wait_alu 0xfffd
	v_add_co_ci_u32_e32 v13, vcc_lo, s3, v9, vcc_lo
	global_load_b128 v[18:21], v62, s[8:9] offset:3808
	global_load_b128 v[8:11], v[12:13], off
	s_wait_loadcnt 0x5
	scratch_store_b128 off, v[22:25], off offset:248 ; 16-byte Folded Spill
	s_wait_loadcnt 0x4
	v_mul_f64_e32 v[14:15], v[2:3], v[24:25]
	v_mul_f64_e32 v[16:17], v[0:1], v[24:25]
	s_wait_loadcnt 0x3
	scratch_store_b128 off, v[26:29], off offset:264 ; 16-byte Folded Spill
	s_wait_loadcnt 0x1
	scratch_store_b128 off, v[18:21], off offset:184 ; 16-byte Folded Spill
	v_fma_f64 v[68:69], v[0:1], v[22:23], v[14:15]
	v_fma_f64 v[70:71], v[2:3], v[22:23], -v[16:17]
	v_mul_f64_e32 v[0:1], v[6:7], v[28:29]
	v_mul_f64_e32 v[2:3], v[4:5], v[28:29]
	s_delay_alu instid0(VALU_DEP_2) | instskip(NEXT) | instid1(VALU_DEP_2)
	v_fma_f64 v[72:73], v[4:5], v[26:27], v[0:1]
	v_fma_f64 v[74:75], v[6:7], v[26:27], -v[2:3]
	s_wait_loadcnt 0x0
	v_mul_f64_e32 v[0:1], v[10:11], v[20:21]
	v_mul_f64_e32 v[2:3], v[8:9], v[20:21]
	v_add_co_u32 v4, vcc_lo, v12, s2
	s_wait_alu 0xfffd
	v_add_co_ci_u32_e32 v5, vcc_lo, s3, v13, vcc_lo
	s_delay_alu instid0(VALU_DEP_4) | instskip(NEXT) | instid1(VALU_DEP_4)
	v_fma_f64 v[76:77], v[8:9], v[18:19], v[0:1]
	v_fma_f64 v[78:79], v[10:11], v[18:19], -v[2:3]
	global_load_b128 v[10:13], v62, s[8:9] offset:5712
	global_load_b128 v[0:3], v[4:5], off
	v_add_co_u32 v4, vcc_lo, v4, s2
	s_wait_alu 0xfffd
	v_add_co_ci_u32_e32 v5, vcc_lo, s3, v5, vcc_lo
	s_wait_loadcnt 0x1
	scratch_store_b128 off, v[10:13], off offset:232 ; 16-byte Folded Spill
	s_wait_loadcnt 0x0
	v_mul_f64_e32 v[6:7], v[2:3], v[12:13]
	v_mul_f64_e32 v[8:9], v[0:1], v[12:13]
	s_delay_alu instid0(VALU_DEP_2) | instskip(NEXT) | instid1(VALU_DEP_2)
	v_fma_f64 v[80:81], v[0:1], v[10:11], v[6:7]
	v_fma_f64 v[82:83], v[2:3], v[10:11], -v[8:9]
	global_load_b128 v[10:13], v62, s[8:9] offset:7616
	global_load_b128 v[0:3], v[4:5], off
	v_add_co_u32 v4, vcc_lo, v4, s2
	s_wait_alu 0xfffd
	v_add_co_ci_u32_e32 v5, vcc_lo, s3, v5, vcc_lo
	s_wait_loadcnt 0x1
	scratch_store_b128 off, v[10:13], off offset:216 ; 16-byte Folded Spill
	s_wait_loadcnt 0x0
	v_mul_f64_e32 v[6:7], v[2:3], v[12:13]
	v_mul_f64_e32 v[8:9], v[0:1], v[12:13]
	s_delay_alu instid0(VALU_DEP_2) | instskip(NEXT) | instid1(VALU_DEP_2)
	;; [unrolled: 13-line block ×3, first 2 shown]
	v_fma_f64 v[88:89], v[0:1], v[10:11], v[6:7]
	v_fma_f64 v[90:91], v[2:3], v[10:11], -v[8:9]
	global_load_b128 v[10:13], v62, s[8:9] offset:11424
	global_load_b128 v[0:3], v[4:5], off
	s_wait_loadcnt 0x1
	scratch_store_b128 off, v[10:13], off offset:64 ; 16-byte Folded Spill
	s_wait_loadcnt 0x0
	v_mul_f64_e32 v[8:9], v[0:1], v[12:13]
	v_mul_f64_e32 v[6:7], v[2:3], v[12:13]
	s_delay_alu instid0(VALU_DEP_2) | instskip(SKIP_3) | instid1(VALU_DEP_4)
	v_fma_f64 v[2:3], v[2:3], v[10:11], -v[8:9]
	v_add_co_u32 v8, vcc_lo, v4, s2
	s_wait_alu 0xfffd
	v_add_co_ci_u32_e32 v9, vcc_lo, s3, v5, vcc_lo
	v_fma_f64 v[0:1], v[0:1], v[10:11], v[6:7]
	global_load_b128 v[14:17], v62, s[8:9] offset:13328
	global_load_b128 v[4:7], v[8:9], off
	s_wait_loadcnt 0x1
	scratch_store_b128 off, v[14:17], off offset:80 ; 16-byte Folded Spill
	s_wait_loadcnt 0x0
	v_mul_f64_e32 v[12:13], v[4:5], v[16:17]
	v_mul_f64_e32 v[10:11], v[6:7], v[16:17]
	s_delay_alu instid0(VALU_DEP_2) | instskip(SKIP_3) | instid1(VALU_DEP_4)
	v_fma_f64 v[6:7], v[6:7], v[14:15], -v[12:13]
	v_add_co_u32 v12, vcc_lo, v8, s2
	s_wait_alu 0xfffd
	v_add_co_ci_u32_e32 v13, vcc_lo, s3, v9, vcc_lo
	v_fma_f64 v[4:5], v[4:5], v[14:15], v[10:11]
	;; [unrolled: 13-line block ×9, first 2 shown]
	global_load_b128 v[46:49], v62, s[8:9] offset:28560
	global_load_b128 v[36:39], v[40:41], off
	v_add_co_u32 v40, vcc_lo, v40, s2
	s_wait_alu 0xfffd
	v_add_co_ci_u32_e32 v41, vcc_lo, s3, v41, vcc_lo
	s_mov_b32 s2, 0x910ea3b9
	s_mov_b32 s3, 0xbfeb34fa
	v_cmp_gt_u16_e32 vcc_lo, 51, v56
	s_wait_loadcnt 0x1
	scratch_store_b128 off, v[46:49], off offset:312 ; 16-byte Folded Spill
	s_wait_loadcnt 0x0
	v_mul_f64_e32 v[42:43], v[38:39], v[48:49]
	v_mul_f64_e32 v[44:45], v[36:37], v[48:49]
	s_delay_alu instid0(VALU_DEP_2)
	v_fma_f64 v[36:37], v[36:37], v[46:47], v[42:43]
	global_load_b128 v[40:43], v[40:41], off
	global_load_b128 v[48:51], v62, s[8:9] offset:30464
	v_fma_f64 v[38:39], v[38:39], v[46:47], -v[44:45]
	s_wait_loadcnt 0x0
	v_mul_f64_e32 v[44:45], v[42:43], v[50:51]
	v_mul_f64_e32 v[46:47], v[40:41], v[50:51]
	scratch_store_b128 off, v[48:51], off offset:328 ; 16-byte Folded Spill
	v_fma_f64 v[40:41], v[40:41], v[48:49], v[44:45]
	v_fma_f64 v[42:43], v[42:43], v[48:49], -v[46:47]
	ds_store_b128 v62, v[68:71]
	ds_store_b128 v62, v[72:75] offset:1904
	ds_store_b128 v62, v[76:79] offset:3808
	;; [unrolled: 1-line block ×16, first 2 shown]
	s_load_b128 s[4:7], s[6:7], 0x0
	global_wb scope:SCOPE_SE
	s_wait_storecnt_dscnt 0x0
	s_wait_kmcnt 0x0
	s_barrier_signal -1
	s_barrier_wait -1
	global_inv scope:SCOPE_SE
	ds_load_b128 v[68:71], v62
	ds_load_b128 v[72:75], v62 offset:1904
	ds_load_b128 v[76:79], v62 offset:3808
	ds_load_b128 v[80:83], v62 offset:5712
	ds_load_b128 v[84:87], v62 offset:7616
	ds_load_b128 v[88:91], v62 offset:9520
	ds_load_b128 v[92:95], v62 offset:11424
	ds_load_b128 v[96:99], v62 offset:13328
	ds_load_b128 v[100:103], v62 offset:15232
	ds_load_b128 v[104:107], v62 offset:17136
	ds_load_b128 v[8:11], v62 offset:19040
	s_wait_dscnt 0x9
	v_add_f64_e32 v[0:1], v[68:69], v[72:73]
	v_add_f64_e32 v[2:3], v[70:71], v[74:75]
	s_wait_dscnt 0x1
	v_add_f64_e64 v[32:33], v[100:101], -v[104:105]
	s_wait_dscnt 0x0
	v_add_f64_e64 v[112:113], v[96:97], -v[8:9]
	v_add_f64_e64 v[36:37], v[98:99], -v[10:11]
	;; [unrolled: 1-line block ×3, first 2 shown]
	v_add_f64_e32 v[0:1], v[0:1], v[76:77]
	v_add_f64_e32 v[2:3], v[2:3], v[78:79]
	v_mul_f64_e32 v[178:179], s[30:31], v[32:33]
	v_mul_f64_e32 v[162:163], s[30:31], v[112:113]
	;; [unrolled: 1-line block ×7, first 2 shown]
	v_add_f64_e32 v[0:1], v[0:1], v[80:81]
	v_add_f64_e32 v[2:3], v[2:3], v[82:83]
	s_delay_alu instid0(VALU_DEP_2) | instskip(NEXT) | instid1(VALU_DEP_2)
	v_add_f64_e32 v[0:1], v[0:1], v[84:85]
	v_add_f64_e32 v[2:3], v[2:3], v[86:87]
	s_delay_alu instid0(VALU_DEP_2) | instskip(NEXT) | instid1(VALU_DEP_2)
	;; [unrolled: 3-line block ×5, first 2 shown]
	v_add_f64_e32 v[4:5], v[0:1], v[100:101]
	v_add_f64_e32 v[6:7], v[2:3], v[102:103]
	;; [unrolled: 1-line block ×4, first 2 shown]
	s_delay_alu instid0(VALU_DEP_4) | instskip(NEXT) | instid1(VALU_DEP_4)
	v_add_f64_e32 v[12:13], v[4:5], v[104:105]
	v_add_f64_e32 v[14:15], v[6:7], v[106:107]
	;; [unrolled: 1-line block ×4, first 2 shown]
	s_delay_alu instid0(VALU_DEP_4) | instskip(NEXT) | instid1(VALU_DEP_4)
	v_add_f64_e32 v[16:17], v[12:13], v[8:9]
	v_add_f64_e32 v[18:19], v[14:15], v[10:11]
	ds_load_b128 v[12:15], v62 offset:20944
	s_wait_dscnt 0x0
	v_add_f64_e32 v[8:9], v[92:93], v[12:13]
	v_add_f64_e32 v[10:11], v[94:95], v[14:15]
	v_add_f64_e64 v[38:39], v[92:93], -v[12:13]
	v_add_f64_e64 v[92:93], v[94:95], -v[14:15]
	v_add_f64_e32 v[20:21], v[16:17], v[12:13]
	v_add_f64_e32 v[22:23], v[18:19], v[14:15]
	ds_load_b128 v[16:19], v62 offset:22848
	s_wait_dscnt 0x0
	v_add_f64_e32 v[12:13], v[88:89], v[16:17]
	v_add_f64_e32 v[14:15], v[90:91], v[18:19]
	v_add_f64_e64 v[94:95], v[88:89], -v[16:17]
	v_add_f64_e64 v[114:115], v[90:91], -v[18:19]
	v_mul_f64_e32 v[168:169], s[34:35], v[92:93]
	v_mul_f64_e32 v[170:171], s[34:35], v[38:39]
	;; [unrolled: 1-line block ×4, first 2 shown]
	v_add_f64_e32 v[24:25], v[20:21], v[16:17]
	v_add_f64_e32 v[26:27], v[22:23], v[18:19]
	ds_load_b128 v[20:23], v62 offset:24752
	s_wait_dscnt 0x0
	v_add_f64_e32 v[16:17], v[84:85], v[20:21]
	v_add_f64_e32 v[18:19], v[86:87], v[22:23]
	v_add_f64_e64 v[116:117], v[84:85], -v[20:21]
	v_add_f64_e64 v[118:119], v[86:87], -v[22:23]
	v_add_f64_e32 v[28:29], v[24:25], v[20:21]
	v_add_f64_e32 v[30:31], v[26:27], v[22:23]
	ds_load_b128 v[24:27], v62 offset:26656
	s_wait_dscnt 0x0
	v_add_f64_e32 v[20:21], v[80:81], v[24:25]
	v_add_f64_e32 v[22:23], v[82:83], v[26:27]
	v_add_f64_e64 v[120:121], v[80:81], -v[24:25]
	v_add_f64_e64 v[122:123], v[82:83], -v[26:27]
	v_add_f64_e32 v[40:41], v[28:29], v[24:25]
	v_add_f64_e32 v[42:43], v[30:31], v[26:27]
	ds_load_b128 v[28:31], v62 offset:28560
	s_wait_dscnt 0x0
	v_add_f64_e32 v[24:25], v[76:77], v[28:29]
	v_add_f64_e32 v[26:27], v[78:79], v[30:31]
	v_add_f64_e64 v[124:125], v[76:77], -v[28:29]
	v_add_f64_e64 v[126:127], v[78:79], -v[30:31]
	v_add_f64_e32 v[40:41], v[40:41], v[28:29]
	v_add_f64_e32 v[42:43], v[42:43], v[30:31]
	ds_load_b128 v[28:31], v62 offset:30464
	global_wb scope:SCOPE_SE
	s_wait_dscnt 0x0
	s_barrier_signal -1
	s_barrier_wait -1
	global_inv scope:SCOPE_SE
	v_add_f64_e64 v[44:45], v[74:75], -v[30:31]
	v_add_f64_e32 v[46:47], v[72:73], v[28:29]
	v_add_f64_e32 v[48:49], v[74:75], v[30:31]
	v_add_f64_e64 v[50:51], v[72:73], -v[28:29]
	v_add_f64_e32 v[72:73], v[40:41], v[28:29]
	v_add_f64_e32 v[74:75], v[42:43], v[30:31]
	v_mul_f64_e32 v[28:29], s[34:35], v[44:45]
	v_mul_f64_e32 v[30:31], s[40:41], v[44:45]
	;; [unrolled: 1-line block ×13, first 2 shown]
	v_fma_f64 v[59:60], v[46:47], s[14:15], -v[28:29]
	v_fma_f64 v[28:29], v[46:47], s[14:15], v[28:29]
	v_fma_f64 v[80:81], v[46:47], s[16:17], -v[30:31]
	v_fma_f64 v[30:31], v[46:47], s[16:17], v[30:31]
	;; [unrolled: 2-line block ×8, first 2 shown]
	v_mul_f64_e32 v[44:45], s[34:35], v[50:51]
	v_mul_f64_e32 v[46:47], s[40:41], v[50:51]
	;; [unrolled: 1-line block ×3, first 2 shown]
	v_fma_f64 v[106:107], v[48:49], s[24:25], v[76:77]
	v_fma_f64 v[138:139], v[48:49], s[20:21], v[84:85]
	v_fma_f64 v[152:153], v[48:49], s[2:3], v[86:87]
	v_fma_f64 v[154:155], v[48:49], s[2:3], -v[86:87]
	v_fma_f64 v[134:135], v[48:49], s[18:19], v[82:83]
	v_fma_f64 v[130:131], v[48:49], s[12:13], v[78:79]
	v_fma_f64 v[132:133], v[48:49], s[12:13], -v[78:79]
	v_fma_f64 v[128:129], v[48:49], s[24:25], -v[76:77]
	;; [unrolled: 1-line block ×4, first 2 shown]
	v_add_f64_e32 v[59:60], v[68:69], v[59:60]
	v_add_f64_e32 v[78:79], v[68:69], v[28:29]
	;; [unrolled: 1-line block ×6, first 2 shown]
	v_mul_f64_e32 v[100:101], s[42:43], v[122:123]
	v_add_f64_e32 v[146:147], v[68:69], v[54:55]
	v_add_f64_e32 v[142:143], v[68:69], v[102:103]
	v_mul_f64_e32 v[102:103], s[42:43], v[120:121]
	v_fma_f64 v[90:91], v[48:49], s[14:15], v[44:45]
	v_fma_f64 v[104:105], v[48:49], s[16:17], v[46:47]
	v_fma_f64 v[46:47], v[48:49], s[16:17], -v[46:47]
	v_fma_f64 v[156:157], v[48:49], s[22:23], v[50:51]
	v_fma_f64 v[158:159], v[48:49], s[22:23], -v[50:51]
	v_add_f64_e32 v[50:51], v[68:69], v[96:97]
	v_mul_f64_e32 v[96:97], s[40:41], v[126:127]
	v_add_f64_e32 v[148:149], v[70:71], v[138:139]
	v_add_f64_e32 v[138:139], v[68:69], v[57:58]
	;; [unrolled: 1-line block ×4, first 2 shown]
	v_mul_f64_e32 v[108:109], s[38:39], v[118:119]
	v_fma_f64 v[44:45], v[48:49], s[14:15], -v[44:45]
	v_add_f64_e32 v[48:49], v[70:71], v[130:131]
	v_add_f64_e32 v[130:131], v[68:69], v[110:111]
	v_mul_f64_e32 v[110:111], s[38:39], v[116:117]
	v_add_f64_e32 v[144:145], v[70:71], v[140:141]
	v_add_f64_e32 v[140:141], v[70:71], v[152:153]
	v_mul_f64_e32 v[152:153], s[26:27], v[114:115]
	v_add_f64_e32 v[30:31], v[70:71], v[128:129]
	v_fma_f64 v[57:58], v[20:21], s[24:25], -v[100:101]
	v_add_f64_e32 v[160:161], v[70:71], v[90:91]
	v_add_f64_e32 v[90:91], v[68:69], v[88:89]
	;; [unrolled: 1-line block ×7, first 2 shown]
	v_fma_f64 v[52:53], v[24:25], s[16:17], -v[96:97]
	v_mul_f64_e32 v[98:99], s[40:41], v[124:125]
	v_add_f64_e32 v[84:85], v[70:71], v[104:105]
	v_add_f64_e32 v[104:105], v[70:71], v[136:137]
	;; [unrolled: 1-line block ×3, first 2 shown]
	v_mul_f64_e32 v[154:155], s[26:27], v[94:95]
	v_add_f64_e32 v[76:77], v[70:71], v[44:45]
	v_add_f64_e32 v[44:45], v[70:71], v[132:133]
	;; [unrolled: 1-line block ×3, first 2 shown]
	v_mul_f64_e32 v[156:157], s[28:29], v[92:93]
	v_add_f64_e32 v[128:129], v[70:71], v[158:159]
	v_mul_f64_e32 v[158:159], s[28:29], v[38:39]
	v_add_f64_e32 v[52:53], v[52:53], v[59:60]
	v_fma_f64 v[54:55], v[26:27], s[16:17], v[98:99]
	s_delay_alu instid0(VALU_DEP_2) | instskip(NEXT) | instid1(VALU_DEP_2)
	v_add_f64_e32 v[52:53], v[57:58], v[52:53]
	v_add_f64_e32 v[54:55], v[54:55], v[160:161]
	v_fma_f64 v[57:58], v[22:23], s[24:25], v[102:103]
	v_mul_f64_e32 v[160:161], s[30:31], v[36:37]
	s_delay_alu instid0(VALU_DEP_2) | instskip(SKIP_1) | instid1(VALU_DEP_1)
	v_add_f64_e32 v[54:55], v[57:58], v[54:55]
	v_fma_f64 v[57:58], v[16:17], s[12:13], -v[108:109]
	v_add_f64_e32 v[52:53], v[57:58], v[52:53]
	v_fma_f64 v[57:58], v[18:19], s[12:13], v[110:111]
	s_delay_alu instid0(VALU_DEP_1) | instskip(SKIP_1) | instid1(VALU_DEP_1)
	v_add_f64_e32 v[54:55], v[57:58], v[54:55]
	v_fma_f64 v[57:58], v[12:13], s[18:19], -v[152:153]
	v_add_f64_e32 v[52:53], v[57:58], v[52:53]
	v_fma_f64 v[57:58], v[14:15], s[18:19], v[154:155]
	s_delay_alu instid0(VALU_DEP_1) | instskip(SKIP_1) | instid1(VALU_DEP_1)
	;; [unrolled: 5-line block ×4, first 2 shown]
	v_add_f64_e32 v[54:55], v[57:58], v[54:55]
	v_mul_f64_e32 v[57:58], s[36:37], v[34:35]
	v_fma_f64 v[59:60], v[0:1], s[22:23], -v[57:58]
	v_fma_f64 v[57:58], v[0:1], s[22:23], v[57:58]
	s_delay_alu instid0(VALU_DEP_2) | instskip(SKIP_1) | instid1(VALU_DEP_1)
	v_add_f64_e32 v[68:69], v[59:60], v[52:53]
	v_mul_f64_e32 v[52:53], s[36:37], v[32:33]
	v_fma_f64 v[59:60], v[2:3], s[22:23], v[52:53]
	v_fma_f64 v[52:53], v[2:3], s[22:23], -v[52:53]
	s_delay_alu instid0(VALU_DEP_2) | instskip(SKIP_4) | instid1(VALU_DEP_4)
	v_add_f64_e32 v[70:71], v[59:60], v[54:55]
	v_fma_f64 v[54:55], v[24:25], s[16:17], v[96:97]
	v_fma_f64 v[59:60], v[26:27], s[16:17], -v[98:99]
	v_mul_f64_e32 v[96:97], s[28:29], v[122:123]
	v_mul_f64_e32 v[98:99], s[28:29], v[120:121]
	v_add_f64_e32 v[54:55], v[54:55], v[78:79]
	s_delay_alu instid0(VALU_DEP_4) | instskip(SKIP_2) | instid1(VALU_DEP_2)
	v_add_f64_e32 v[59:60], v[59:60], v[76:77]
	v_fma_f64 v[76:77], v[20:21], s[24:25], v[100:101]
	v_mul_f64_e32 v[100:101], s[36:37], v[118:119]
	v_add_f64_e32 v[54:55], v[76:77], v[54:55]
	v_fma_f64 v[76:77], v[22:23], s[24:25], -v[102:103]
	v_mul_f64_e32 v[102:103], s[36:37], v[116:117]
	s_delay_alu instid0(VALU_DEP_2) | instskip(SKIP_2) | instid1(VALU_DEP_2)
	v_add_f64_e32 v[59:60], v[76:77], v[59:60]
	v_fma_f64 v[76:77], v[16:17], s[12:13], v[108:109]
	v_mul_f64_e32 v[108:109], s[54:55], v[114:115]
	v_add_f64_e32 v[54:55], v[76:77], v[54:55]
	v_fma_f64 v[76:77], v[18:19], s[12:13], -v[110:111]
	v_mul_f64_e32 v[110:111], s[54:55], v[94:95]
	s_delay_alu instid0(VALU_DEP_2) | instskip(SKIP_2) | instid1(VALU_DEP_2)
	;; [unrolled: 7-line block ×4, first 2 shown]
	v_add_f64_e32 v[59:60], v[76:77], v[59:60]
	v_fma_f64 v[76:77], v[4:5], s[2:3], v[160:161]
	v_mul_f64_e32 v[160:161], s[46:47], v[34:35]
	v_add_f64_e32 v[54:55], v[76:77], v[54:55]
	v_fma_f64 v[76:77], v[6:7], s[2:3], -v[162:163]
	v_mul_f64_e32 v[162:163], s[50:51], v[116:117]
	s_delay_alu instid0(VALU_DEP_2) | instskip(NEXT) | instid1(VALU_DEP_4)
	v_add_f64_e32 v[59:60], v[76:77], v[59:60]
	v_add_f64_e32 v[76:77], v[57:58], v[54:55]
	v_mul_f64_e32 v[57:58], s[38:39], v[124:125]
	s_delay_alu instid0(VALU_DEP_3) | instskip(SKIP_1) | instid1(VALU_DEP_3)
	v_add_f64_e32 v[78:79], v[52:53], v[59:60]
	v_mul_f64_e32 v[52:53], s[38:39], v[126:127]
	v_fma_f64 v[59:60], v[26:27], s[12:13], v[57:58]
	v_fma_f64 v[57:58], v[26:27], s[12:13], -v[57:58]
	s_delay_alu instid0(VALU_DEP_3) | instskip(NEXT) | instid1(VALU_DEP_3)
	v_fma_f64 v[54:55], v[24:25], s[12:13], -v[52:53]
	v_add_f64_e32 v[59:60], v[59:60], v[84:85]
	v_fma_f64 v[84:85], v[20:21], s[20:21], -v[96:97]
	v_fma_f64 v[52:53], v[24:25], s[12:13], v[52:53]
	v_add_f64_e32 v[57:58], v[57:58], v[80:81]
	v_add_f64_e32 v[54:55], v[54:55], v[86:87]
	s_delay_alu instid0(VALU_DEP_3) | instskip(NEXT) | instid1(VALU_DEP_2)
	v_add_f64_e32 v[52:53], v[52:53], v[82:83]
	v_add_f64_e32 v[54:55], v[84:85], v[54:55]
	v_fma_f64 v[84:85], v[22:23], s[20:21], v[98:99]
	s_delay_alu instid0(VALU_DEP_1) | instskip(SKIP_1) | instid1(VALU_DEP_1)
	v_add_f64_e32 v[59:60], v[84:85], v[59:60]
	v_fma_f64 v[84:85], v[16:17], s[22:23], -v[100:101]
	v_add_f64_e32 v[54:55], v[84:85], v[54:55]
	v_fma_f64 v[84:85], v[18:19], s[22:23], v[102:103]
	s_delay_alu instid0(VALU_DEP_1) | instskip(SKIP_1) | instid1(VALU_DEP_1)
	v_add_f64_e32 v[59:60], v[84:85], v[59:60]
	v_fma_f64 v[84:85], v[12:13], s[2:3], -v[108:109]
	;; [unrolled: 5-line block ×5, first 2 shown]
	v_add_f64_e32 v[84:85], v[84:85], v[54:55]
	v_mul_f64_e32 v[54:55], s[46:47], v[32:33]
	s_delay_alu instid0(VALU_DEP_1) | instskip(SKIP_1) | instid1(VALU_DEP_2)
	v_fma_f64 v[86:87], v[2:3], s[14:15], v[54:55]
	v_fma_f64 v[54:55], v[2:3], s[14:15], -v[54:55]
	v_add_f64_e32 v[86:87], v[86:87], v[59:60]
	v_fma_f64 v[59:60], v[20:21], s[20:21], v[96:97]
	s_delay_alu instid0(VALU_DEP_1) | instskip(SKIP_1) | instid1(VALU_DEP_1)
	v_add_f64_e32 v[52:53], v[59:60], v[52:53]
	v_fma_f64 v[59:60], v[22:23], s[20:21], -v[98:99]
	v_add_f64_e32 v[57:58], v[59:60], v[57:58]
	v_fma_f64 v[59:60], v[16:17], s[22:23], v[100:101]
	s_delay_alu instid0(VALU_DEP_1) | instskip(SKIP_1) | instid1(VALU_DEP_1)
	v_add_f64_e32 v[52:53], v[59:60], v[52:53]
	v_fma_f64 v[59:60], v[18:19], s[22:23], -v[102:103]
	v_add_f64_e32 v[57:58], v[59:60], v[57:58]
	v_fma_f64 v[59:60], v[12:13], s[2:3], v[108:109]
	v_mul_f64_e32 v[108:109], s[42:43], v[114:115]
	s_delay_alu instid0(VALU_DEP_2) | instskip(SKIP_2) | instid1(VALU_DEP_2)
	v_add_f64_e32 v[52:53], v[59:60], v[52:53]
	v_fma_f64 v[59:60], v[14:15], s[2:3], -v[110:111]
	v_mul_f64_e32 v[110:111], s[42:43], v[94:95]
	v_add_f64_e32 v[57:58], v[59:60], v[57:58]
	v_fma_f64 v[59:60], v[8:9], s[18:19], v[152:153]
	v_mul_f64_e32 v[152:153], s[28:29], v[126:127]
	s_delay_alu instid0(VALU_DEP_2) | instskip(SKIP_2) | instid1(VALU_DEP_2)
	v_add_f64_e32 v[52:53], v[59:60], v[52:53]
	v_fma_f64 v[59:60], v[10:11], s[18:19], -v[154:155]
	v_mul_f64_e32 v[154:155], s[28:29], v[124:125]
	v_add_f64_e32 v[57:58], v[59:60], v[57:58]
	v_fma_f64 v[59:60], v[4:5], s[24:25], v[156:157]
	v_mul_f64_e32 v[156:157], s[48:49], v[122:123]
	s_delay_alu instid0(VALU_DEP_2)
	v_add_f64_e32 v[52:53], v[59:60], v[52:53]
	v_fma_f64 v[59:60], v[6:7], s[24:25], -v[158:159]
	v_mul_f64_e32 v[158:159], s[48:49], v[120:121]
	s_mov_b32 s49, 0x3fe58eea
	s_mov_b32 s48, s40
	s_wait_alu 0xfffe
	v_mul_f64_e32 v[164:165], s[48:49], v[114:115]
	v_mul_f64_e32 v[166:167], s[48:49], v[94:95]
	;; [unrolled: 1-line block ×3, first 2 shown]
	v_add_f64_e32 v[57:58], v[59:60], v[57:58]
	v_fma_f64 v[59:60], v[0:1], s[14:15], v[160:161]
	v_mul_f64_e32 v[160:161], s[50:51], v[118:119]
	s_delay_alu instid0(VALU_DEP_3) | instskip(NEXT) | instid1(VALU_DEP_3)
	v_add_f64_e32 v[82:83], v[54:55], v[57:58]
	v_add_f64_e32 v[80:81], v[59:60], v[52:53]
	v_fma_f64 v[52:53], v[24:25], s[20:21], -v[152:153]
	v_fma_f64 v[54:55], v[26:27], s[20:21], v[154:155]
	v_fma_f64 v[57:58], v[20:21], s[22:23], -v[156:157]
	s_delay_alu instid0(VALU_DEP_3) | instskip(NEXT) | instid1(VALU_DEP_3)
	v_add_f64_e32 v[52:53], v[52:53], v[90:91]
	v_add_f64_e32 v[54:55], v[54:55], v[88:89]
	s_delay_alu instid0(VALU_DEP_2) | instskip(SKIP_1) | instid1(VALU_DEP_1)
	v_add_f64_e32 v[52:53], v[57:58], v[52:53]
	v_fma_f64 v[57:58], v[22:23], s[22:23], v[158:159]
	v_add_f64_e32 v[54:55], v[57:58], v[54:55]
	v_fma_f64 v[57:58], v[16:17], s[18:19], -v[160:161]
	s_delay_alu instid0(VALU_DEP_1) | instskip(SKIP_1) | instid1(VALU_DEP_1)
	v_add_f64_e32 v[52:53], v[57:58], v[52:53]
	v_fma_f64 v[57:58], v[18:19], s[18:19], v[162:163]
	v_add_f64_e32 v[54:55], v[57:58], v[54:55]
	v_fma_f64 v[57:58], v[12:13], s[16:17], -v[164:165]
	s_delay_alu instid0(VALU_DEP_1) | instskip(SKIP_1) | instid1(VALU_DEP_1)
	;; [unrolled: 5-line block ×5, first 2 shown]
	v_add_f64_e32 v[88:89], v[57:58], v[52:53]
	v_fma_f64 v[52:53], v[2:3], s[2:3], v[178:179]
	v_add_f64_e32 v[90:91], v[52:53], v[54:55]
	v_mul_f64_e32 v[52:53], s[36:37], v[126:127]
	s_delay_alu instid0(VALU_DEP_1) | instskip(NEXT) | instid1(VALU_DEP_1)
	v_fma_f64 v[54:55], v[24:25], s[22:23], -v[52:53]
	v_add_f64_e32 v[50:51], v[54:55], v[50:51]
	v_mul_f64_e32 v[54:55], s[36:37], v[124:125]
	s_delay_alu instid0(VALU_DEP_1) | instskip(NEXT) | instid1(VALU_DEP_1)
	v_fma_f64 v[57:58], v[26:27], s[22:23], v[54:55]
	v_add_f64_e32 v[48:49], v[57:58], v[48:49]
	v_mul_f64_e32 v[57:58], s[50:51], v[122:123]
	s_delay_alu instid0(VALU_DEP_1) | instskip(NEXT) | instid1(VALU_DEP_1)
	v_fma_f64 v[59:60], v[20:21], s[18:19], -v[57:58]
	v_add_f64_e32 v[50:51], v[59:60], v[50:51]
	v_mul_f64_e32 v[59:60], s[50:51], v[120:121]
	s_delay_alu instid0(VALU_DEP_1) | instskip(NEXT) | instid1(VALU_DEP_1)
	;; [unrolled: 8-line block ×3, first 2 shown]
	v_fma_f64 v[100:101], v[18:19], s[14:15], v[98:99]
	v_add_f64_e32 v[48:49], v[100:101], v[48:49]
	v_fma_f64 v[100:101], v[12:13], s[24:25], -v[108:109]
	s_delay_alu instid0(VALU_DEP_1) | instskip(SKIP_1) | instid1(VALU_DEP_1)
	v_add_f64_e32 v[50:51], v[100:101], v[50:51]
	v_fma_f64 v[100:101], v[14:15], s[24:25], v[110:111]
	v_add_f64_e32 v[48:49], v[100:101], v[48:49]
	v_fma_f64 v[100:101], v[8:9], s[2:3], -v[180:181]
	s_delay_alu instid0(VALU_DEP_1) | instskip(SKIP_1) | instid1(VALU_DEP_1)
	v_add_f64_e32 v[50:51], v[100:101], v[50:51]
	;; [unrolled: 5-line block ×4, first 2 shown]
	v_mul_f64_e32 v[50:51], s[48:49], v[32:33]
	v_fma_f64 v[102:103], v[2:3], s[16:17], v[50:51]
	v_fma_f64 v[50:51], v[2:3], s[16:17], -v[50:51]
	s_delay_alu instid0(VALU_DEP_2) | instskip(SKIP_1) | instid1(VALU_DEP_1)
	v_add_f64_e32 v[102:103], v[102:103], v[48:49]
	v_fma_f64 v[48:49], v[24:25], s[22:23], v[52:53]
	v_add_f64_e32 v[46:47], v[48:49], v[46:47]
	v_fma_f64 v[48:49], v[26:27], s[22:23], -v[54:55]
	s_delay_alu instid0(VALU_DEP_1) | instskip(SKIP_1) | instid1(VALU_DEP_1)
	v_add_f64_e32 v[44:45], v[48:49], v[44:45]
	v_fma_f64 v[48:49], v[20:21], s[18:19], v[57:58]
	v_add_f64_e32 v[46:47], v[48:49], v[46:47]
	v_fma_f64 v[48:49], v[22:23], s[18:19], -v[59:60]
	s_delay_alu instid0(VALU_DEP_1) | instskip(SKIP_1) | instid1(VALU_DEP_1)
	;; [unrolled: 5-line block ×4, first 2 shown]
	v_add_f64_e32 v[44:45], v[48:49], v[44:45]
	v_fma_f64 v[48:49], v[8:9], s[2:3], v[180:181]
	v_add_f64_e32 v[46:47], v[48:49], v[46:47]
	v_fma_f64 v[48:49], v[10:11], s[2:3], -v[182:183]
	s_delay_alu instid0(VALU_DEP_1) | instskip(SKIP_2) | instid1(VALU_DEP_2)
	v_add_f64_e32 v[44:45], v[48:49], v[44:45]
	v_fma_f64 v[48:49], v[4:5], s[20:21], v[184:185]
	v_mul_f64_e32 v[184:185], s[34:35], v[36:37]
	v_add_f64_e32 v[46:47], v[48:49], v[46:47]
	v_fma_f64 v[48:49], v[6:7], s[20:21], -v[186:187]
	v_mul_f64_e32 v[186:187], s[34:35], v[112:113]
	s_delay_alu instid0(VALU_DEP_2) | instskip(SKIP_2) | instid1(VALU_DEP_3)
	v_add_f64_e32 v[44:45], v[48:49], v[44:45]
	v_fma_f64 v[48:49], v[0:1], s[16:17], v[188:189]
	v_mul_f64_e32 v[188:189], s[28:29], v[34:35]
	v_add_f64_e32 v[98:99], v[50:51], v[44:45]
	v_mul_f64_e32 v[44:45], s[54:55], v[126:127]
	s_delay_alu instid0(VALU_DEP_4) | instskip(NEXT) | instid1(VALU_DEP_2)
	v_add_f64_e32 v[96:97], v[48:49], v[46:47]
	v_fma_f64 v[46:47], v[24:25], s[2:3], -v[44:45]
	s_delay_alu instid0(VALU_DEP_1) | instskip(SKIP_1) | instid1(VALU_DEP_1)
	v_add_f64_e32 v[42:43], v[46:47], v[42:43]
	v_mul_f64_e32 v[46:47], s[54:55], v[124:125]
	v_fma_f64 v[48:49], v[26:27], s[2:3], v[46:47]
	s_delay_alu instid0(VALU_DEP_1) | instskip(SKIP_1) | instid1(VALU_DEP_1)
	v_add_f64_e32 v[40:41], v[48:49], v[40:41]
	v_mul_f64_e32 v[48:49], s[48:49], v[122:123]
	v_fma_f64 v[50:51], v[20:21], s[16:17], -v[48:49]
	s_delay_alu instid0(VALU_DEP_1) | instskip(SKIP_1) | instid1(VALU_DEP_1)
	v_add_f64_e32 v[42:43], v[50:51], v[42:43]
	v_mul_f64_e32 v[50:51], s[48:49], v[120:121]
	v_fma_f64 v[52:53], v[22:23], s[16:17], v[50:51]
	s_delay_alu instid0(VALU_DEP_1) | instskip(SKIP_1) | instid1(VALU_DEP_1)
	v_add_f64_e32 v[40:41], v[52:53], v[40:41]
	v_mul_f64_e32 v[52:53], s[42:43], v[118:119]
	v_fma_f64 v[54:55], v[16:17], s[24:25], -v[52:53]
	s_delay_alu instid0(VALU_DEP_1)
	v_add_f64_e32 v[42:43], v[54:55], v[42:43]
	v_mul_f64_e32 v[54:55], s[42:43], v[116:117]
	s_mov_b32 s43, 0x3fefdd0d
	s_mov_b32 s42, s38
	s_wait_alu 0xfffe
	v_mul_f64_e32 v[180:181], s[42:43], v[92:93]
	v_mul_f64_e32 v[182:183], s[42:43], v[38:39]
	s_delay_alu instid0(VALU_DEP_3) | instskip(NEXT) | instid1(VALU_DEP_1)
	v_fma_f64 v[57:58], v[18:19], s[24:25], v[54:55]
	v_add_f64_e32 v[40:41], v[57:58], v[40:41]
	v_mul_f64_e32 v[57:58], s[36:37], v[114:115]
	s_delay_alu instid0(VALU_DEP_1) | instskip(NEXT) | instid1(VALU_DEP_1)
	v_fma_f64 v[59:60], v[12:13], s[22:23], -v[57:58]
	v_add_f64_e32 v[42:43], v[59:60], v[42:43]
	v_mul_f64_e32 v[59:60], s[36:37], v[94:95]
	s_delay_alu instid0(VALU_DEP_1) | instskip(NEXT) | instid1(VALU_DEP_1)
	v_fma_f64 v[108:109], v[14:15], s[22:23], v[59:60]
	v_add_f64_e32 v[40:41], v[108:109], v[40:41]
	v_fma_f64 v[108:109], v[8:9], s[12:13], -v[180:181]
	s_delay_alu instid0(VALU_DEP_1) | instskip(SKIP_1) | instid1(VALU_DEP_1)
	v_add_f64_e32 v[42:43], v[108:109], v[42:43]
	v_fma_f64 v[108:109], v[10:11], s[12:13], v[182:183]
	v_add_f64_e32 v[40:41], v[108:109], v[40:41]
	v_fma_f64 v[108:109], v[4:5], s[14:15], -v[184:185]
	s_delay_alu instid0(VALU_DEP_1) | instskip(SKIP_1) | instid1(VALU_DEP_1)
	v_add_f64_e32 v[42:43], v[108:109], v[42:43]
	;; [unrolled: 5-line block ×3, first 2 shown]
	v_mul_f64_e32 v[42:43], s[28:29], v[32:33]
	v_fma_f64 v[110:111], v[2:3], s[20:21], v[42:43]
	v_fma_f64 v[42:43], v[2:3], s[20:21], -v[42:43]
	s_delay_alu instid0(VALU_DEP_2) | instskip(SKIP_4) | instid1(VALU_DEP_4)
	v_add_f64_e32 v[110:111], v[110:111], v[40:41]
	v_fma_f64 v[40:41], v[24:25], s[2:3], v[44:45]
	v_fma_f64 v[44:45], v[26:27], s[2:3], -v[46:47]
	v_fma_f64 v[46:47], v[20:21], s[16:17], v[48:49]
	v_mul_f64_e32 v[48:49], s[34:35], v[122:123]
	v_add_f64_e32 v[40:41], v[40:41], v[106:107]
	s_delay_alu instid0(VALU_DEP_4) | instskip(NEXT) | instid1(VALU_DEP_2)
	v_add_f64_e32 v[44:45], v[44:45], v[104:105]
	v_add_f64_e32 v[40:41], v[46:47], v[40:41]
	v_fma_f64 v[46:47], v[22:23], s[16:17], -v[50:51]
	v_fma_f64 v[50:51], v[20:21], s[14:15], -v[48:49]
	v_fma_f64 v[48:49], v[20:21], s[14:15], v[48:49]
	s_delay_alu instid0(VALU_DEP_3) | instskip(SKIP_1) | instid1(VALU_DEP_1)
	v_add_f64_e32 v[44:45], v[46:47], v[44:45]
	v_fma_f64 v[46:47], v[16:17], s[24:25], v[52:53]
	v_add_f64_e32 v[40:41], v[46:47], v[40:41]
	v_fma_f64 v[46:47], v[18:19], s[24:25], -v[54:55]
	s_delay_alu instid0(VALU_DEP_1) | instskip(SKIP_1) | instid1(VALU_DEP_1)
	v_add_f64_e32 v[44:45], v[46:47], v[44:45]
	v_fma_f64 v[46:47], v[12:13], s[22:23], v[57:58]
	v_add_f64_e32 v[40:41], v[46:47], v[40:41]
	v_fma_f64 v[46:47], v[14:15], s[22:23], -v[59:60]
	s_delay_alu instid0(VALU_DEP_1) | instskip(SKIP_1) | instid1(VALU_DEP_1)
	;; [unrolled: 5-line block ×3, first 2 shown]
	v_add_f64_e32 v[44:45], v[46:47], v[44:45]
	v_fma_f64 v[46:47], v[4:5], s[14:15], v[184:185]
	v_add_f64_e32 v[40:41], v[46:47], v[40:41]
	v_fma_f64 v[46:47], v[6:7], s[14:15], -v[186:187]
	s_delay_alu instid0(VALU_DEP_1) | instskip(SKIP_1) | instid1(VALU_DEP_2)
	v_add_f64_e32 v[44:45], v[46:47], v[44:45]
	v_fma_f64 v[46:47], v[0:1], s[20:21], v[188:189]
	v_add_f64_e32 v[106:107], v[42:43], v[44:45]
	v_mul_f64_e32 v[44:45], s[50:51], v[126:127]
	s_delay_alu instid0(VALU_DEP_3) | instskip(SKIP_1) | instid1(VALU_DEP_3)
	v_add_f64_e32 v[104:105], v[46:47], v[40:41]
	v_mul_f64_e32 v[46:47], s[50:51], v[124:125]
	v_fma_f64 v[40:41], v[24:25], s[18:19], -v[44:45]
	v_fma_f64 v[44:45], v[24:25], s[18:19], v[44:45]
	s_delay_alu instid0(VALU_DEP_3) | instskip(SKIP_1) | instid1(VALU_DEP_4)
	v_fma_f64 v[42:43], v[26:27], s[18:19], v[46:47]
	v_fma_f64 v[46:47], v[26:27], s[18:19], -v[46:47]
	v_add_f64_e32 v[40:41], v[40:41], v[150:151]
	s_delay_alu instid0(VALU_DEP_4) | instskip(NEXT) | instid1(VALU_DEP_4)
	v_add_f64_e32 v[44:45], v[44:45], v[146:147]
	v_add_f64_e32 v[42:43], v[42:43], v[148:149]
	s_delay_alu instid0(VALU_DEP_4) | instskip(NEXT) | instid1(VALU_DEP_4)
	v_add_f64_e32 v[46:47], v[46:47], v[144:145]
	v_add_f64_e32 v[40:41], v[50:51], v[40:41]
	v_mul_f64_e32 v[50:51], s[34:35], v[120:121]
	v_add_f64_e32 v[44:45], v[48:49], v[44:45]
	s_delay_alu instid0(VALU_DEP_2) | instskip(SKIP_1) | instid1(VALU_DEP_2)
	v_fma_f64 v[52:53], v[22:23], s[14:15], v[50:51]
	v_fma_f64 v[48:49], v[22:23], s[14:15], -v[50:51]
	v_add_f64_e32 v[42:43], v[52:53], v[42:43]
	v_mul_f64_e32 v[52:53], s[30:31], v[118:119]
	s_delay_alu instid0(VALU_DEP_3) | instskip(NEXT) | instid1(VALU_DEP_2)
	v_add_f64_e32 v[46:47], v[48:49], v[46:47]
	v_fma_f64 v[54:55], v[16:17], s[2:3], -v[52:53]
	v_fma_f64 v[48:49], v[16:17], s[2:3], v[52:53]
	v_mul_f64_e32 v[52:53], s[44:45], v[126:127]
	s_delay_alu instid0(VALU_DEP_3) | instskip(SKIP_1) | instid1(VALU_DEP_4)
	v_add_f64_e32 v[40:41], v[54:55], v[40:41]
	v_mul_f64_e32 v[54:55], s[30:31], v[116:117]
	v_add_f64_e32 v[44:45], v[48:49], v[44:45]
	s_delay_alu instid0(VALU_DEP_2) | instskip(SKIP_3) | instid1(VALU_DEP_4)
	v_fma_f64 v[57:58], v[18:19], s[2:3], v[54:55]
	v_fma_f64 v[48:49], v[18:19], s[2:3], -v[54:55]
	v_mul_f64_e32 v[54:55], s[44:45], v[124:125]
	v_mul_f64_e32 v[124:125], s[46:47], v[124:125]
	v_add_f64_e32 v[42:43], v[57:58], v[42:43]
	v_mul_f64_e32 v[57:58], s[42:43], v[114:115]
	v_add_f64_e32 v[46:47], v[48:49], v[46:47]
	s_delay_alu instid0(VALU_DEP_2) | instskip(SKIP_3) | instid1(VALU_DEP_4)
	v_fma_f64 v[59:60], v[12:13], s[12:13], -v[57:58]
	v_fma_f64 v[48:49], v[12:13], s[12:13], v[57:58]
	v_mul_f64_e32 v[57:58], s[38:39], v[122:123]
	v_mul_f64_e32 v[122:123], s[30:31], v[122:123]
	v_add_f64_e32 v[40:41], v[59:60], v[40:41]
	v_mul_f64_e32 v[59:60], s[42:43], v[94:95]
	v_add_f64_e32 v[44:45], v[48:49], v[44:45]
	s_delay_alu instid0(VALU_DEP_2) | instskip(SKIP_3) | instid1(VALU_DEP_4)
	v_fma_f64 v[148:149], v[14:15], s[12:13], v[59:60]
	v_fma_f64 v[48:49], v[14:15], s[12:13], -v[59:60]
	v_fma_f64 v[59:60], v[20:21], s[12:13], -v[57:58]
	v_fma_f64 v[57:58], v[20:21], s[12:13], v[57:58]
	v_add_f64_e32 v[42:43], v[148:149], v[42:43]
	v_mul_f64_e32 v[148:149], s[40:41], v[92:93]
	v_add_f64_e32 v[46:47], v[48:49], v[46:47]
	s_delay_alu instid0(VALU_DEP_2) | instskip(SKIP_1) | instid1(VALU_DEP_2)
	v_fma_f64 v[150:151], v[8:9], s[16:17], -v[148:149]
	v_fma_f64 v[48:49], v[8:9], s[16:17], v[148:149]
	v_add_f64_e32 v[40:41], v[150:151], v[40:41]
	v_mul_f64_e32 v[150:151], s[40:41], v[38:39]
	s_delay_alu instid0(VALU_DEP_3) | instskip(NEXT) | instid1(VALU_DEP_2)
	v_add_f64_e32 v[44:45], v[48:49], v[44:45]
	v_fma_f64 v[180:181], v[10:11], s[16:17], v[150:151]
	v_fma_f64 v[48:49], v[10:11], s[16:17], -v[150:151]
	s_delay_alu instid0(VALU_DEP_2) | instskip(SKIP_1) | instid1(VALU_DEP_3)
	v_add_f64_e32 v[42:43], v[180:181], v[42:43]
	v_mul_f64_e32 v[180:181], s[36:37], v[36:37]
	v_add_f64_e32 v[46:47], v[48:49], v[46:47]
	s_delay_alu instid0(VALU_DEP_2) | instskip(SKIP_1) | instid1(VALU_DEP_2)
	v_fma_f64 v[182:183], v[4:5], s[22:23], -v[180:181]
	v_fma_f64 v[48:49], v[4:5], s[22:23], v[180:181]
	v_add_f64_e32 v[40:41], v[182:183], v[40:41]
	v_mul_f64_e32 v[182:183], s[36:37], v[112:113]
	s_delay_alu instid0(VALU_DEP_3) | instskip(NEXT) | instid1(VALU_DEP_2)
	v_add_f64_e32 v[44:45], v[48:49], v[44:45]
	v_fma_f64 v[184:185], v[6:7], s[22:23], v[182:183]
	v_fma_f64 v[48:49], v[6:7], s[22:23], -v[182:183]
	s_delay_alu instid0(VALU_DEP_2) | instskip(SKIP_1) | instid1(VALU_DEP_3)
	v_add_f64_e32 v[42:43], v[184:185], v[42:43]
	v_mul_f64_e32 v[184:185], s[44:45], v[34:35]
	v_add_f64_e32 v[46:47], v[48:49], v[46:47]
	s_delay_alu instid0(VALU_DEP_2) | instskip(SKIP_1) | instid1(VALU_DEP_2)
	v_fma_f64 v[186:187], v[0:1], s[24:25], -v[184:185]
	v_fma_f64 v[48:49], v[0:1], s[24:25], v[184:185]
	v_add_f64_e32 v[40:41], v[186:187], v[40:41]
	v_mul_f64_e32 v[186:187], s[44:45], v[32:33]
	s_delay_alu instid0(VALU_DEP_3) | instskip(SKIP_2) | instid1(VALU_DEP_4)
	v_add_f64_e32 v[44:45], v[48:49], v[44:45]
	v_fma_f64 v[48:49], v[24:25], s[24:25], -v[52:53]
	v_fma_f64 v[52:53], v[24:25], s[24:25], v[52:53]
	v_fma_f64 v[50:51], v[2:3], s[24:25], -v[186:187]
	v_fma_f64 v[188:189], v[2:3], s[24:25], v[186:187]
	s_delay_alu instid0(VALU_DEP_4) | instskip(NEXT) | instid1(VALU_DEP_4)
	v_add_f64_e32 v[48:49], v[48:49], v[142:143]
	v_add_f64_e32 v[52:53], v[52:53], v[138:139]
	s_delay_alu instid0(VALU_DEP_4) | instskip(SKIP_1) | instid1(VALU_DEP_4)
	v_add_f64_e32 v[46:47], v[50:51], v[46:47]
	v_fma_f64 v[50:51], v[26:27], s[24:25], v[54:55]
	v_add_f64_e32 v[48:49], v[59:60], v[48:49]
	v_mul_f64_e32 v[59:60], s[38:39], v[120:121]
	v_fma_f64 v[54:55], v[26:27], s[24:25], -v[54:55]
	v_add_f64_e32 v[52:53], v[57:58], v[52:53]
	v_mul_f64_e32 v[120:121], s[30:31], v[120:121]
	v_add_f64_e32 v[42:43], v[188:189], v[42:43]
	v_add_f64_e32 v[50:51], v[50:51], v[140:141]
	v_fma_f64 v[140:141], v[22:23], s[12:13], v[59:60]
	v_add_f64_e32 v[54:55], v[54:55], v[136:137]
	v_fma_f64 v[57:58], v[22:23], s[12:13], -v[59:60]
	s_delay_alu instid0(VALU_DEP_3) | instskip(SKIP_1) | instid1(VALU_DEP_3)
	v_add_f64_e32 v[50:51], v[140:141], v[50:51]
	v_mul_f64_e32 v[140:141], s[52:53], v[118:119]
	v_add_f64_e32 v[54:55], v[57:58], v[54:55]
	v_mul_f64_e32 v[118:119], s[48:49], v[118:119]
	s_delay_alu instid0(VALU_DEP_3) | instskip(SKIP_1) | instid1(VALU_DEP_2)
	v_fma_f64 v[142:143], v[16:17], s[20:21], -v[140:141]
	v_fma_f64 v[57:58], v[16:17], s[20:21], v[140:141]
	v_add_f64_e32 v[48:49], v[142:143], v[48:49]
	v_mul_f64_e32 v[142:143], s[52:53], v[116:117]
	s_delay_alu instid0(VALU_DEP_3) | instskip(SKIP_1) | instid1(VALU_DEP_3)
	v_add_f64_e32 v[52:53], v[57:58], v[52:53]
	v_mul_f64_e32 v[116:117], s[48:49], v[116:117]
	v_fma_f64 v[144:145], v[18:19], s[20:21], v[142:143]
	v_fma_f64 v[57:58], v[18:19], s[20:21], -v[142:143]
	s_delay_alu instid0(VALU_DEP_2) | instskip(SKIP_1) | instid1(VALU_DEP_3)
	v_add_f64_e32 v[50:51], v[144:145], v[50:51]
	v_mul_f64_e32 v[144:145], s[34:35], v[114:115]
	v_add_f64_e32 v[54:55], v[57:58], v[54:55]
	v_mul_f64_e32 v[114:115], s[28:29], v[114:115]
	s_delay_alu instid0(VALU_DEP_3) | instskip(SKIP_1) | instid1(VALU_DEP_2)
	v_fma_f64 v[146:147], v[12:13], s[14:15], -v[144:145]
	v_fma_f64 v[57:58], v[12:13], s[14:15], v[144:145]
	v_add_f64_e32 v[48:49], v[146:147], v[48:49]
	v_mul_f64_e32 v[146:147], s[34:35], v[94:95]
	s_delay_alu instid0(VALU_DEP_3) | instskip(SKIP_1) | instid1(VALU_DEP_3)
	v_add_f64_e32 v[52:53], v[57:58], v[52:53]
	v_mul_f64_e32 v[94:95], s[28:29], v[94:95]
	v_fma_f64 v[148:149], v[14:15], s[14:15], v[146:147]
	v_fma_f64 v[57:58], v[14:15], s[14:15], -v[146:147]
	s_delay_alu instid0(VALU_DEP_2) | instskip(SKIP_1) | instid1(VALU_DEP_3)
	;; [unrolled: 15-line block ×4, first 2 shown]
	v_add_f64_e32 v[50:51], v[184:185], v[50:51]
	v_mul_f64_e32 v[184:185], s[26:27], v[34:35]
	v_add_f64_e32 v[54:55], v[57:58], v[54:55]
	s_delay_alu instid0(VALU_DEP_2) | instskip(SKIP_1) | instid1(VALU_DEP_2)
	v_fma_f64 v[186:187], v[0:1], s[18:19], -v[184:185]
	v_fma_f64 v[57:58], v[0:1], s[18:19], v[184:185]
	v_add_f64_e32 v[48:49], v[186:187], v[48:49]
	v_mul_f64_e32 v[186:187], s[26:27], v[32:33]
	s_delay_alu instid0(VALU_DEP_3) | instskip(SKIP_2) | instid1(VALU_DEP_4)
	v_add_f64_e32 v[57:58], v[57:58], v[52:53]
	v_mul_f64_e32 v[52:53], s[46:47], v[126:127]
	v_fma_f64 v[126:127], v[26:27], s[14:15], v[124:125]
	v_fma_f64 v[59:60], v[2:3], s[18:19], -v[186:187]
	v_fma_f64 v[188:189], v[2:3], s[18:19], v[186:187]
	s_delay_alu instid0(VALU_DEP_3)
	v_add_f64_e32 v[126:127], v[126:127], v[132:133]
	v_fma_f64 v[132:133], v[20:21], s[2:3], -v[122:123]
	v_fma_f64 v[122:123], v[20:21], s[2:3], v[122:123]
	v_fma_f64 v[20:21], v[20:21], s[22:23], v[156:157]
	v_add_f64_e32 v[59:60], v[59:60], v[54:55]
	v_fma_f64 v[54:55], v[24:25], s[14:15], -v[52:53]
	v_fma_f64 v[52:53], v[24:25], s[14:15], v[52:53]
	v_fma_f64 v[24:25], v[24:25], s[20:21], v[152:153]
	v_add_f64_e32 v[50:51], v[188:189], v[50:51]
                                        ; implicit-def: $vgpr152_vgpr153
	s_delay_alu instid0(VALU_DEP_4) | instskip(SKIP_3) | instid1(VALU_DEP_4)
	v_add_f64_e32 v[54:55], v[54:55], v[134:135]
	v_mul_f64_e32 v[134:135], s[42:43], v[32:33]
	v_add_f64_e32 v[52:53], v[52:53], v[130:131]
	v_add_f64_e32 v[24:25], v[24:25], v[28:29]
	;; [unrolled: 1-line block ×3, first 2 shown]
	v_fma_f64 v[132:133], v[22:23], s[2:3], v[120:121]
	s_delay_alu instid0(VALU_DEP_4)
	v_add_f64_e32 v[52:53], v[122:123], v[52:53]
	v_fma_f64 v[120:121], v[22:23], s[2:3], -v[120:121]
	v_fma_f64 v[22:23], v[22:23], s[22:23], -v[158:159]
	v_add_f64_e32 v[20:21], v[20:21], v[24:25]
	v_add_f64_e32 v[126:127], v[132:133], v[126:127]
	v_fma_f64 v[132:133], v[16:17], s[16:17], -v[118:119]
	v_fma_f64 v[118:119], v[16:17], s[16:17], v[118:119]
	v_fma_f64 v[16:17], v[16:17], s[18:19], v[160:161]
	s_delay_alu instid0(VALU_DEP_3) | instskip(SKIP_1) | instid1(VALU_DEP_4)
	v_add_f64_e32 v[54:55], v[132:133], v[54:55]
	v_fma_f64 v[132:133], v[18:19], s[16:17], v[116:117]
	v_add_f64_e32 v[52:53], v[118:119], v[52:53]
	v_fma_f64 v[116:117], v[18:19], s[16:17], -v[116:117]
	v_fma_f64 v[18:19], v[18:19], s[18:19], -v[162:163]
	v_add_f64_e32 v[16:17], v[16:17], v[20:21]
	v_add_f64_e32 v[126:127], v[132:133], v[126:127]
	v_fma_f64 v[132:133], v[12:13], s[20:21], -v[114:115]
	v_fma_f64 v[114:115], v[12:13], s[20:21], v[114:115]
	v_fma_f64 v[12:13], v[12:13], s[16:17], v[164:165]
	s_delay_alu instid0(VALU_DEP_3) | instskip(SKIP_1) | instid1(VALU_DEP_4)
	v_add_f64_e32 v[54:55], v[132:133], v[54:55]
	v_fma_f64 v[132:133], v[14:15], s[20:21], v[94:95]
	;; [unrolled: 11-line block ×4, first 2 shown]
	v_add_f64_e32 v[36:37], v[36:37], v[52:53]
	v_fma_f64 v[52:53], v[6:7], s[18:19], -v[112:113]
	v_fma_f64 v[6:7], v[6:7], s[12:13], -v[174:175]
	v_add_f64_e32 v[4:5], v[4:5], v[8:9]
	v_add_f64_e32 v[126:127], v[132:133], v[126:127]
	v_mul_f64_e32 v[132:133], s[42:43], v[34:35]
	v_fma_f64 v[34:35], v[2:3], s[12:13], v[134:135]
	s_delay_alu instid0(VALU_DEP_2) | instskip(NEXT) | instid1(VALU_DEP_2)
	v_fma_f64 v[32:33], v[0:1], s[12:13], -v[132:133]
	v_add_f64_e32 v[34:35], v[34:35], v[126:127]
	s_delay_alu instid0(VALU_DEP_2) | instskip(SKIP_2) | instid1(VALU_DEP_2)
	v_add_f64_e32 v[32:33], v[32:33], v[54:55]
	v_fma_f64 v[54:55], v[26:27], s[14:15], -v[124:125]
	v_fma_f64 v[26:27], v[26:27], s[20:21], -v[154:155]
	v_add_f64_e32 v[54:55], v[54:55], v[128:129]
	s_delay_alu instid0(VALU_DEP_2) | instskip(NEXT) | instid1(VALU_DEP_2)
	v_add_f64_e32 v[26:27], v[26:27], v[30:31]
                                        ; implicit-def: $vgpr128_vgpr129
	v_add_f64_e32 v[54:55], v[120:121], v[54:55]
	s_delay_alu instid0(VALU_DEP_2) | instskip(NEXT) | instid1(VALU_DEP_2)
	v_add_f64_e32 v[22:23], v[22:23], v[26:27]
	v_add_f64_e32 v[54:55], v[116:117], v[54:55]
	s_delay_alu instid0(VALU_DEP_2) | instskip(NEXT) | instid1(VALU_DEP_2)
	v_add_f64_e32 v[18:19], v[18:19], v[22:23]
	;; [unrolled: 3-line block ×3, first 2 shown]
	v_add_f64_e32 v[38:39], v[38:39], v[54:55]
	s_delay_alu instid0(VALU_DEP_2) | instskip(SKIP_2) | instid1(VALU_DEP_4)
	v_add_f64_e32 v[10:11], v[10:11], v[14:15]
	v_fma_f64 v[54:55], v[2:3], s[12:13], -v[134:135]
	v_fma_f64 v[2:3], v[2:3], s[2:3], -v[178:179]
	v_add_f64_e32 v[38:39], v[52:53], v[38:39]
	v_fma_f64 v[52:53], v[0:1], s[12:13], v[132:133]
	v_fma_f64 v[0:1], v[0:1], s[2:3], v[176:177]
	v_add_f64_e32 v[6:7], v[6:7], v[10:11]
	v_add_co_u32 v8, s2, s8, v62
	s_wait_alu 0xf1ff
	v_add_co_ci_u32_e64 v9, null, s9, 0, s2
	v_add_f64_e32 v[38:39], v[54:55], v[38:39]
	v_add_f64_e32 v[36:37], v[52:53], v[36:37]
	;; [unrolled: 1-line block ×4, first 2 shown]
	v_mul_lo_u16 v0, v56, 17
	s_delay_alu instid0(VALU_DEP_1) | instskip(NEXT) | instid1(VALU_DEP_1)
	v_and_b32_e32 v0, 0xffff, v0
	v_lshlrev_b32_e32 v54, 4, v0
	ds_store_b128 v54, v[68:71] offset:16
	ds_store_b128 v54, v[84:87] offset:32
	;; [unrolled: 1-line block ×13, first 2 shown]
	ds_store_b128 v54, v[72:75]
	ds_store_b128 v54, v[92:95] offset:224
	ds_store_b128 v54, v[80:83] offset:240
	;; [unrolled: 1-line block ×3, first 2 shown]
	global_wb scope:SCOPE_SE
	s_wait_dscnt 0x0
	s_barrier_signal -1
	s_barrier_wait -1
	global_inv scope:SCOPE_SE
	ds_load_b128 v[100:103], v62
	ds_load_b128 v[144:147], v62 offset:4624
	ds_load_b128 v[140:143], v62 offset:9248
	;; [unrolled: 1-line block ×13, first 2 shown]
                                        ; implicit-def: $vgpr108_vgpr109
                                        ; implicit-def: $vgpr104_vgpr105
	s_and_saveexec_b32 s2, vcc_lo
	s_cbranch_execz .LBB0_3
; %bb.2:
	ds_load_b128 v[92:95], v62 offset:3808
	ds_load_b128 v[80:83], v62 offset:8432
	;; [unrolled: 1-line block ×7, first 2 shown]
.LBB0_3:
	s_wait_alu 0xfffe
	s_or_b32 exec_lo, exec_lo, s2
	v_and_b32_e32 v0, 0xff, v65
	s_mov_b32 s24, 0xaaaaaaaa
	s_mov_b32 s25, 0xbff2aaaa
	;; [unrolled: 1-line block ×4, first 2 shown]
	v_mul_lo_u16 v0, 0xf1, v0
	s_mov_b32 s16, 0x37e14327
	s_mov_b32 s29, 0xbfe11646
	;; [unrolled: 1-line block ×4, first 2 shown]
	v_lshrrev_b16 v55, 12, v0
	s_mov_b32 s2, 0x36b3c0b5
	s_mov_b32 s26, 0x5476071b
	;; [unrolled: 1-line block ×4, first 2 shown]
	v_mul_lo_u16 v0, v55, 17
	v_and_b32_e32 v52, 0xffff, v55
	s_mov_b32 s27, 0x3fe77f67
	s_mov_b32 s19, 0xbfe77f67
	;; [unrolled: 1-line block ×3, first 2 shown]
	v_sub_nc_u16 v0, v65, v0
	v_mul_u32_u24_e32 v52, 0x77, v52
	s_mov_b32 s23, 0xbfd5d0dc
	s_wait_alu 0xfffe
	s_mov_b32 s22, s20
	s_mov_b32 s18, s26
	v_and_b32_e32 v58, 0xff, v0
	s_mov_b32 s12, 0x37c3f68c
	s_mov_b32 s13, 0x3fdc38aa
	s_delay_alu instid0(VALU_DEP_1) | instskip(SKIP_1) | instid1(VALU_DEP_2)
	v_mul_u32_u24_e32 v0, 6, v58
	v_add_lshl_u32 v55, v52, v58, 4
	v_lshlrev_b32_e32 v2, 4, v0
	s_clause 0x5
	global_load_b128 v[148:151], v2, s[10:11]
	global_load_b128 v[168:171], v2, s[10:11] offset:16
	global_load_b128 v[172:175], v2, s[10:11] offset:80
	;; [unrolled: 1-line block ×5, first 2 shown]
	s_wait_loadcnt_dscnt 0x50c
	v_mul_f64_e32 v[0:1], v[146:147], v[150:151]
	s_delay_alu instid0(VALU_DEP_1) | instskip(SKIP_1) | instid1(VALU_DEP_1)
	v_fma_f64 v[38:39], v[144:145], v[148:149], -v[0:1]
	v_mul_f64_e32 v[0:1], v[144:145], v[150:151]
	v_fma_f64 v[40:41], v[146:147], v[148:149], v[0:1]
	s_wait_loadcnt_dscnt 0x40b
	v_mul_f64_e32 v[0:1], v[142:143], v[170:171]
	s_delay_alu instid0(VALU_DEP_1) | instskip(SKIP_1) | instid1(VALU_DEP_1)
	v_fma_f64 v[42:43], v[140:141], v[168:169], -v[0:1]
	v_mul_f64_e32 v[0:1], v[140:141], v[170:171]
	v_fma_f64 v[44:45], v[142:143], v[168:169], v[0:1]
	s_wait_loadcnt_dscnt 0x307
	v_mul_f64_e32 v[0:1], v[138:139], v[174:175]
	s_delay_alu instid0(VALU_DEP_1) | instskip(SKIP_1) | instid1(VALU_DEP_2)
	v_fma_f64 v[46:47], v[136:137], v[172:173], -v[0:1]
	v_mul_f64_e32 v[0:1], v[136:137], v[174:175]
	v_add_f64_e32 v[59:60], v[38:39], v[46:47]
	s_delay_alu instid0(VALU_DEP_2) | instskip(SKIP_3) | instid1(VALU_DEP_3)
	v_fma_f64 v[48:49], v[138:139], v[172:173], v[0:1]
	s_wait_loadcnt 0x2
	v_mul_f64_e32 v[0:1], v[134:135], v[178:179]
	v_add_f64_e64 v[46:47], v[38:39], -v[46:47]
	v_add_f64_e32 v[136:137], v[40:41], v[48:49]
	s_delay_alu instid0(VALU_DEP_3) | instskip(SKIP_2) | instid1(VALU_DEP_2)
	v_fma_f64 v[50:51], v[132:133], v[176:177], -v[0:1]
	v_mul_f64_e32 v[0:1], v[132:133], v[178:179]
	v_add_f64_e64 v[48:49], v[40:41], -v[48:49]
	v_fma_f64 v[132:133], v[134:135], v[176:177], v[0:1]
	s_wait_loadcnt 0x1
	v_mul_f64_e32 v[0:1], v[126:127], v[162:163]
	s_delay_alu instid0(VALU_DEP_2) | instskip(NEXT) | instid1(VALU_DEP_2)
	v_add_f64_e32 v[138:139], v[44:45], v[132:133]
	v_fma_f64 v[134:135], v[124:125], v[160:161], -v[0:1]
	v_mul_f64_e32 v[0:1], v[124:125], v[162:163]
	v_add_f64_e64 v[44:45], v[44:45], -v[132:133]
	s_delay_alu instid0(VALU_DEP_2) | instskip(SKIP_2) | instid1(VALU_DEP_3)
	v_fma_f64 v[124:125], v[126:127], v[160:161], v[0:1]
	s_wait_loadcnt 0x0
	v_mul_f64_e32 v[0:1], v[122:123], v[166:167]
	v_add_f64_e64 v[132:133], v[44:45], -v[48:49]
	s_delay_alu instid0(VALU_DEP_2) | instskip(SKIP_1) | instid1(VALU_DEP_1)
	v_fma_f64 v[126:127], v[120:121], v[164:165], -v[0:1]
	v_mul_f64_e32 v[0:1], v[120:121], v[166:167]
	v_fma_f64 v[120:121], v[122:123], v[164:165], v[0:1]
	v_add_nc_u16 v0, v65, 0x77
	s_delay_alu instid0(VALU_DEP_1) | instskip(NEXT) | instid1(VALU_DEP_1)
	v_and_b32_e32 v1, 0xff, v0
	v_mul_lo_u16 v1, 0xf1, v1
	s_delay_alu instid0(VALU_DEP_1) | instskip(NEXT) | instid1(VALU_DEP_1)
	v_lshrrev_b16 v56, 12, v1
	v_mul_lo_u16 v1, v56, 17
	s_delay_alu instid0(VALU_DEP_1) | instskip(NEXT) | instid1(VALU_DEP_1)
	v_sub_nc_u16 v0, v0, v1
	v_and_b32_e32 v57, 0xff, v0
	s_delay_alu instid0(VALU_DEP_1) | instskip(SKIP_1) | instid1(VALU_DEP_2)
	v_mul_u32_u24_e32 v0, 6, v57
	v_add_f64_e32 v[140:141], v[124:125], v[120:121]
	v_lshlrev_b32_e32 v2, 4, v0
	s_clause 0x5
	global_load_b128 v[180:183], v2, s[10:11]
	global_load_b128 v[184:187], v2, s[10:11] offset:16
	global_load_b128 v[188:191], v2, s[10:11] offset:80
	;; [unrolled: 1-line block ×5, first 2 shown]
	s_wait_loadcnt_dscnt 0x505
	v_mul_f64_e32 v[0:1], v[118:119], v[182:183]
	s_delay_alu instid0(VALU_DEP_1) | instskip(SKIP_1) | instid1(VALU_DEP_1)
	v_fma_f64 v[22:23], v[116:117], v[180:181], -v[0:1]
	v_mul_f64_e32 v[0:1], v[116:117], v[182:183]
	v_fma_f64 v[24:25], v[118:119], v[180:181], v[0:1]
	s_wait_loadcnt_dscnt 0x404
	v_mul_f64_e32 v[0:1], v[114:115], v[186:187]
	s_delay_alu instid0(VALU_DEP_1) | instskip(SKIP_1) | instid1(VALU_DEP_1)
	v_fma_f64 v[26:27], v[112:113], v[184:185], -v[0:1]
	v_mul_f64_e32 v[0:1], v[112:113], v[186:187]
	v_fma_f64 v[28:29], v[114:115], v[184:185], v[0:1]
	s_wait_loadcnt_dscnt 0x300
	v_mul_f64_e32 v[0:1], v[74:75], v[190:191]
	s_delay_alu instid0(VALU_DEP_1) | instskip(SKIP_1) | instid1(VALU_DEP_2)
	v_fma_f64 v[30:31], v[72:73], v[188:189], -v[0:1]
	v_mul_f64_e32 v[0:1], v[72:73], v[190:191]
	v_add_f64_e32 v[144:145], v[22:23], v[30:31]
	s_delay_alu instid0(VALU_DEP_2) | instskip(SKIP_3) | instid1(VALU_DEP_3)
	v_fma_f64 v[32:33], v[74:75], v[188:189], v[0:1]
	s_wait_loadcnt 0x2
	v_mul_f64_e32 v[0:1], v[70:71], v[194:195]
	v_add_f64_e64 v[30:31], v[22:23], -v[30:31]
	v_add_f64_e32 v[156:157], v[24:25], v[32:33]
	s_delay_alu instid0(VALU_DEP_3) | instskip(SKIP_2) | instid1(VALU_DEP_3)
	v_fma_f64 v[34:35], v[68:69], v[192:193], -v[0:1]
	v_mul_f64_e32 v[0:1], v[68:69], v[194:195]
	v_add_f64_e64 v[32:33], v[24:25], -v[32:33]
	v_add_f64_e32 v[146:147], v[26:27], v[34:35]
	s_delay_alu instid0(VALU_DEP_3) | instskip(SKIP_2) | instid1(VALU_DEP_2)
	v_fma_f64 v[36:37], v[70:71], v[192:193], v[0:1]
	v_add_nc_u16 v0, v65, 0xee
	v_add_f64_e64 v[26:27], v[26:27], -v[34:35]
	v_and_b32_e32 v1, 0xffff, v0
	s_delay_alu instid0(VALU_DEP_1) | instskip(NEXT) | instid1(VALU_DEP_1)
	v_mul_u32_u24_e32 v1, 0xf0f1, v1
	v_lshrrev_b32_e32 v1, 20, v1
	scratch_store_b32 off, v1, off offset:344 ; 4-byte Folded Spill
	v_mul_lo_u16 v1, v1, 17
	s_delay_alu instid0(VALU_DEP_1) | instskip(SKIP_2) | instid1(VALU_DEP_1)
	v_sub_nc_u16 v0, v0, v1
	scratch_store_b32 off, v0, off offset:352 ; 4-byte Folded Spill
	v_mul_lo_u16 v0, v0, 6
	v_and_b32_e32 v0, 0xffff, v0
	v_add_f64_e32 v[158:159], v[28:29], v[36:37]
	v_add_f64_e64 v[28:29], v[28:29], -v[36:37]
	s_delay_alu instid0(VALU_DEP_3)
	v_lshlrev_b32_e32 v3, 4, v0
	s_clause 0x3
	global_load_b128 v[10:13], v3, s[10:11]
	global_load_b128 v[14:17], v3, s[10:11] offset:16
	global_load_b128 v[18:21], v3, s[10:11] offset:80
	;; [unrolled: 1-line block ×3, first 2 shown]
	s_wait_loadcnt 0x3
	v_mul_f64_e32 v[0:1], v[82:83], v[12:13]
	scratch_store_b128 off, v[10:13], off offset:376 ; 16-byte Folded Spill
	s_wait_loadcnt 0x2
	scratch_store_b128 off, v[14:17], off offset:392 ; 16-byte Folded Spill
	s_wait_loadcnt 0x1
	;; [unrolled: 2-line block ×3, first 2 shown]
	scratch_store_b128 off, v[66:69], off offset:424 ; 16-byte Folded Spill
	v_fma_f64 v[6:7], v[80:81], v[10:11], -v[0:1]
	v_mul_f64_e32 v[0:1], v[80:81], v[12:13]
	s_delay_alu instid0(VALU_DEP_1) | instskip(SKIP_1) | instid1(VALU_DEP_1)
	v_fma_f64 v[4:5], v[82:83], v[10:11], v[0:1]
	v_mul_f64_e32 v[0:1], v[78:79], v[16:17]
	v_fma_f64 v[12:13], v[76:77], v[14:15], -v[0:1]
	v_mul_f64_e32 v[0:1], v[76:77], v[16:17]
	s_delay_alu instid0(VALU_DEP_1) | instskip(SKIP_1) | instid1(VALU_DEP_1)
	v_fma_f64 v[10:11], v[78:79], v[14:15], v[0:1]
	v_mul_f64_e32 v[0:1], v[154:155], v[20:21]
	v_fma_f64 v[16:17], v[152:153], v[18:19], -v[0:1]
	v_mul_f64_e32 v[0:1], v[152:153], v[20:21]
	s_delay_alu instid0(VALU_DEP_2) | instskip(NEXT) | instid1(VALU_DEP_2)
	v_add_f64_e32 v[212:213], v[6:7], v[16:17]
	v_fma_f64 v[14:15], v[154:155], v[18:19], v[0:1]
	v_mul_f64_e32 v[0:1], v[130:131], v[68:69]
	v_add_f64_e64 v[6:7], v[6:7], -v[16:17]
	s_delay_alu instid0(VALU_DEP_3) | instskip(NEXT) | instid1(VALU_DEP_3)
	v_add_f64_e32 v[216:217], v[4:5], v[14:15]
	v_fma_f64 v[20:21], v[128:129], v[66:67], -v[0:1]
	v_mul_f64_e32 v[0:1], v[128:129], v[68:69]
	v_add_f64_e32 v[128:129], v[134:135], v[126:127]
	v_add_f64_e64 v[4:5], v[4:5], -v[14:15]
	s_delay_alu instid0(VALU_DEP_4) | instskip(NEXT) | instid1(VALU_DEP_4)
	v_add_f64_e32 v[208:209], v[12:13], v[20:21]
	v_fma_f64 v[18:19], v[130:131], v[66:67], v[0:1]
	v_mul_f64_e32 v[0:1], v[90:91], v[198:199]
	global_load_b128 v[66:69], v3, s[10:11] offset:32
	v_add_f64_e64 v[12:13], v[12:13], -v[20:21]
	v_add_f64_e64 v[14:15], v[208:209], -v[212:213]
	v_add_f64_e32 v[218:219], v[10:11], v[18:19]
	v_fma_f64 v[116:117], v[88:89], v[196:197], -v[0:1]
	v_mul_f64_e32 v[0:1], v[88:89], v[198:199]
	v_add_f64_e64 v[10:11], v[10:11], -v[18:19]
	s_delay_alu instid0(VALU_DEP_2) | instskip(SKIP_2) | instid1(VALU_DEP_1)
	v_fma_f64 v[114:115], v[90:91], v[196:197], v[0:1]
	global_load_b128 v[88:91], v3, s[10:11] offset:48
	v_mul_f64_e32 v[0:1], v[86:87], v[202:203]
	v_fma_f64 v[122:123], v[84:85], v[200:201], -v[0:1]
	v_mul_f64_e32 v[0:1], v[84:85], v[202:203]
	s_delay_alu instid0(VALU_DEP_2) | instskip(NEXT) | instid1(VALU_DEP_2)
	v_add_f64_e32 v[152:153], v[116:117], v[122:123]
	v_fma_f64 v[118:119], v[86:87], v[200:201], v[0:1]
	v_add_f64_e64 v[34:35], v[122:123], -v[116:117]
	v_add_f64_e64 v[122:123], v[28:29], -v[32:33]
	s_delay_alu instid0(VALU_DEP_3) | instskip(SKIP_1) | instid1(VALU_DEP_4)
	v_add_f64_e32 v[204:205], v[114:115], v[118:119]
	v_add_f64_e64 v[36:37], v[118:119], -v[114:115]
	v_add_f64_e64 v[24:25], v[34:35], -v[26:27]
	v_add_f64_e32 v[22:23], v[34:35], v[26:27]
	v_add_f64_e64 v[118:119], v[26:27], -v[30:31]
	v_add_f64_e64 v[114:115], v[158:159], -v[156:157]
	;; [unrolled: 1-line block ×4, first 2 shown]
	s_wait_loadcnt 0x1
	v_mul_f64_e32 v[0:1], v[110:111], v[68:69]
	scratch_store_b128 off, v[66:69], off offset:440 ; 16-byte Folded Spill
	global_wb scope:SCOPE_SE
	s_wait_loadcnt 0x0
	s_wait_storecnt 0x0
	s_barrier_signal -1
	s_barrier_wait -1
	global_inv scope:SCOPE_SE
	v_fma_f64 v[112:113], v[108:109], v[66:67], -v[0:1]
	v_mul_f64_e32 v[0:1], v[108:109], v[68:69]
	s_delay_alu instid0(VALU_DEP_1) | instskip(SKIP_1) | instid1(VALU_DEP_1)
	v_fma_f64 v[108:109], v[110:111], v[66:67], v[0:1]
	v_mul_f64_e32 v[0:1], v[106:107], v[90:91]
	v_fma_f64 v[110:111], v[104:105], v[88:89], -v[0:1]
	v_mul_f64_e32 v[0:1], v[104:105], v[90:91]
	s_delay_alu instid0(VALU_DEP_2) | instskip(NEXT) | instid1(VALU_DEP_2)
	v_add_f64_e32 v[214:215], v[112:113], v[110:111]
	v_fma_f64 v[104:105], v[106:107], v[88:89], v[0:1]
	v_add_f64_e32 v[106:107], v[42:43], v[50:51]
	v_add_f64_e64 v[42:43], v[42:43], -v[50:51]
	v_add_f64_e64 v[50:51], v[126:127], -v[134:135]
	;; [unrolled: 1-line block ×4, first 2 shown]
	v_add_f64_e32 v[220:221], v[108:109], v[104:105]
	v_add_f64_e32 v[0:1], v[106:107], v[59:60]
	v_add_f64_e64 v[126:127], v[42:43], -v[46:47]
	v_add_f64_e32 v[38:39], v[50:51], v[42:43]
	v_add_f64_e64 v[40:41], v[50:51], -v[42:43]
	v_add_f64_e64 v[50:51], v[46:47], -v[50:51]
	;; [unrolled: 1-line block ×5, first 2 shown]
	v_add_f64_e32 v[130:131], v[128:129], v[0:1]
	v_add_f64_e32 v[0:1], v[138:139], v[136:137]
	v_mul_f64_e32 v[134:135], s[28:29], v[40:41]
	v_add_f64_e64 v[112:113], v[16:17], -v[10:11]
	v_add_f64_e32 v[110:111], v[16:17], v[10:11]
	v_add_f64_e64 v[10:11], v[10:11], -v[4:5]
	v_mul_f64_e32 v[108:109], s[28:29], v[108:109]
	v_add_f64_e32 v[100:101], v[100:101], v[130:131]
	v_add_f64_e32 v[142:143], v[140:141], v[0:1]
	;; [unrolled: 1-line block ×3, first 2 shown]
	v_mul_f64_e32 v[112:113], s[28:29], v[112:113]
	v_add_f64_e32 v[110:111], v[110:111], v[4:5]
	v_add_f64_e64 v[4:5], v[4:5], -v[16:17]
	v_add_f64_e32 v[102:103], v[102:103], v[142:143]
	v_add_f64_e32 v[154:155], v[152:153], v[0:1]
	;; [unrolled: 1-line block ×3, first 2 shown]
	ds_store_b128 v55, v[100:103]
	v_add_f64_e32 v[96:97], v[96:97], v[154:155]
	v_add_f64_e32 v[206:207], v[204:205], v[0:1]
	;; [unrolled: 1-line block ×3, first 2 shown]
	s_delay_alu instid0(VALU_DEP_2) | instskip(NEXT) | instid1(VALU_DEP_2)
	v_add_f64_e32 v[98:99], v[98:99], v[206:207]
	v_add_f64_e32 v[210:211], v[214:215], v[0:1]
	v_add_f64_e32 v[0:1], v[218:219], v[216:217]
	s_delay_alu instid0(VALU_DEP_1) | instskip(NEXT) | instid1(VALU_DEP_3)
	v_add_f64_e32 v[222:223], v[220:221], v[0:1]
	v_add_f64_e32 v[0:1], v[92:93], v[210:211]
	v_fma_f64 v[92:93], v[130:131], s[24:25], v[100:101]
	v_add_f64_e64 v[100:101], v[120:121], -v[124:125]
	v_add_f64_e64 v[120:121], v[138:139], -v[136:137]
	;; [unrolled: 1-line block ×3, first 2 shown]
	v_add_f64_e32 v[2:3], v[94:95], v[222:223]
	v_fma_f64 v[94:95], v[142:143], s[24:25], v[102:103]
	v_add_f64_e64 v[102:103], v[106:107], -v[59:60]
	v_add_f64_e64 v[58:59], v[59:60], -v[128:129]
	;; [unrolled: 1-line block ×5, first 2 shown]
	v_add_f64_e32 v[130:131], v[100:101], v[44:45]
	v_add_f64_e32 v[142:143], v[38:39], v[46:47]
	v_mul_f64_e32 v[46:47], s[14:15], v[126:127]
	v_add_f64_e64 v[100:101], v[48:49], -v[100:101]
	v_mul_f64_e32 v[40:41], s[2:3], v[124:125]
	v_add_f64_e64 v[140:141], v[32:33], -v[36:37]
	v_mul_f64_e32 v[128:129], s[16:17], v[60:61]
	v_mul_f64_e32 v[38:39], s[2:3], v[106:107]
	;; [unrolled: 1-line block ×3, first 2 shown]
	v_add_f64_e32 v[130:131], v[130:131], v[48:49]
	v_fma_f64 v[42:43], v[126:127], s[14:15], -v[134:135]
	v_mul_f64_e32 v[48:49], s[14:15], v[132:133]
	v_mul_f64_e32 v[126:127], s[16:17], v[58:59]
	s_wait_alu 0xfffe
	v_fma_f64 v[46:47], v[50:51], s[22:23], -v[46:47]
	v_fma_f64 v[40:41], v[120:121], s[26:27], -v[40:41]
	v_fma_f64 v[50:51], v[50:51], s[20:21], v[134:135]
	v_fma_f64 v[60:61], v[120:121], s[18:19], -v[128:129]
	v_fma_f64 v[38:39], v[102:103], s[26:27], -v[38:39]
	v_fma_f64 v[44:45], v[142:143], s[12:13], v[42:43]
	;; [unrolled: 3-line block ×3, first 2 shown]
	v_fma_f64 v[100:101], v[100:101], s[20:21], v[138:139]
	v_fma_f64 v[50:51], v[142:143], s[12:13], v[50:51]
	v_add_f64_e32 v[226:227], v[40:41], v[94:95]
	v_fma_f64 v[42:43], v[132:133], s[14:15], -v[138:139]
	v_fma_f64 v[132:133], v[206:207], s[24:25], v[98:99]
	v_add_f64_e64 v[138:139], v[30:31], -v[34:35]
	v_add_f64_e32 v[60:61], v[60:61], v[94:95]
	v_add_f64_e32 v[224:225], v[38:39], v[92:93]
	v_fma_f64 v[120:121], v[130:131], s[12:13], v[48:49]
	v_add_f64_e32 v[58:59], v[58:59], v[92:93]
	v_fma_f64 v[100:101], v[130:131], s[12:13], v[100:101]
	v_add_f64_e32 v[40:41], v[44:45], v[226:227]
	v_fma_f64 v[42:43], v[130:131], s[12:13], v[42:43]
	v_fma_f64 v[130:131], v[154:155], s[24:25], v[96:97]
	v_add_f64_e64 v[44:45], v[226:227], -v[44:45]
	v_add_f64_e64 v[48:49], v[60:61], -v[102:103]
	v_add_f64_e32 v[60:61], v[102:103], v[60:61]
	v_fma_f64 v[102:103], v[106:107], s[2:3], v[126:127]
	v_fma_f64 v[106:107], v[124:125], s[2:3], v[128:129]
	v_mul_f64_e32 v[124:125], s[28:29], v[24:25]
	v_mul_f64_e32 v[126:127], s[28:29], v[26:27]
	v_add_f64_e32 v[46:47], v[120:121], v[58:59]
	v_add_f64_e64 v[58:59], v[58:59], -v[120:121]
	v_add_f64_e32 v[120:121], v[36:37], v[28:29]
	v_add_f64_e32 v[128:129], v[22:23], v[30:31]
	v_mul_f64_e32 v[24:25], s[2:3], v[116:117]
	v_mul_f64_e32 v[30:31], s[14:15], v[118:119]
	v_add_f64_e64 v[38:39], v[224:225], -v[42:43]
	v_add_f64_e32 v[42:43], v[42:43], v[224:225]
	v_add_f64_e32 v[102:103], v[102:103], v[92:93]
	;; [unrolled: 1-line block ×3, first 2 shown]
	v_fma_f64 v[26:27], v[118:119], s[14:15], -v[124:125]
	v_add_f64_e32 v[120:121], v[120:121], v[32:33]
	v_mul_f64_e32 v[32:33], s[14:15], v[122:123]
	v_fma_f64 v[24:25], v[114:115], s[26:27], -v[24:25]
	v_fma_f64 v[30:31], v[138:139], s[22:23], -v[30:31]
	v_add_f64_e32 v[92:93], v[100:101], v[102:103]
	v_add_f64_e64 v[94:95], v[106:107], -v[50:51]
	v_add_f64_e64 v[100:101], v[102:103], -v[100:101]
	v_add_f64_e32 v[102:103], v[50:51], v[106:107]
	v_add_f64_e64 v[106:107], v[152:153], -v[146:147]
	v_add_f64_e64 v[50:51], v[146:147], -v[144:145]
	v_fma_f64 v[28:29], v[128:129], s[12:13], v[26:27]
	v_fma_f64 v[26:27], v[122:123], s[14:15], -v[126:127]
	v_add_f64_e32 v[136:137], v[24:25], v[132:133]
	v_fma_f64 v[32:33], v[140:141], s[22:23], -v[32:33]
	v_mul_f64_e32 v[22:23], s[2:3], v[106:107]
	s_delay_alu instid0(VALU_DEP_4) | instskip(NEXT) | instid1(VALU_DEP_4)
	v_fma_f64 v[26:27], v[120:121], s[12:13], v[26:27]
	v_add_f64_e32 v[24:25], v[28:29], v[136:137]
	v_add_f64_e64 v[28:29], v[136:137], -v[28:29]
	v_add_f64_e64 v[136:137], v[156:157], -v[204:205]
	v_fma_f64 v[22:23], v[50:51], s[26:27], -v[22:23]
	s_delay_alu instid0(VALU_DEP_2) | instskip(NEXT) | instid1(VALU_DEP_2)
	v_mul_f64_e32 v[122:123], s[16:17], v[136:137]
	v_add_f64_e32 v[134:135], v[22:23], v[130:131]
	s_delay_alu instid0(VALU_DEP_2)
	v_fma_f64 v[36:37], v[114:115], s[18:19], -v[122:123]
	v_fma_f64 v[114:115], v[120:121], s[12:13], v[32:33]
	v_fma_f64 v[116:117], v[116:117], s[2:3], v[122:123]
	v_mul_f64_e32 v[122:123], s[2:3], v[18:19]
	v_add_f64_e64 v[22:23], v[134:135], -v[26:27]
	v_add_f64_e32 v[26:27], v[26:27], v[134:135]
	v_add_f64_e64 v[134:135], v[144:145], -v[152:153]
	v_add_f64_e32 v[36:37], v[36:37], v[132:133]
	v_fma_f64 v[122:123], v[14:15], s[26:27], -v[122:123]
	s_delay_alu instid0(VALU_DEP_3) | instskip(NEXT) | instid1(VALU_DEP_1)
	v_mul_f64_e32 v[118:119], s[16:17], v[134:135]
	v_fma_f64 v[34:35], v[50:51], s[18:19], -v[118:119]
	v_fma_f64 v[50:51], v[128:129], s[12:13], v[30:31]
	v_fma_f64 v[106:107], v[106:107], s[2:3], v[118:119]
	s_delay_alu instid0(VALU_DEP_3) | instskip(NEXT) | instid1(VALU_DEP_3)
	v_add_f64_e32 v[34:35], v[34:35], v[130:131]
	v_add_f64_e64 v[32:33], v[36:37], -v[50:51]
	v_add_f64_e32 v[36:37], v[50:51], v[36:37]
	v_fma_f64 v[50:51], v[138:139], s[20:21], v[124:125]
	v_add_f64_e32 v[106:107], v[106:107], v[130:131]
	v_mul_f64_e32 v[124:125], s[2:3], v[104:105]
	v_add_f64_e32 v[30:31], v[114:115], v[34:35]
	v_add_f64_e64 v[34:35], v[34:35], -v[114:115]
	v_fma_f64 v[114:115], v[140:141], s[20:21], v[126:127]
	v_fma_f64 v[50:51], v[128:129], s[12:13], v[50:51]
	;; [unrolled: 1-line block ×4, first 2 shown]
	s_delay_alu instid0(VALU_DEP_4)
	v_fma_f64 v[118:119], v[120:121], s[12:13], v[114:115]
	v_add_f64_e32 v[120:121], v[116:117], v[132:133]
	v_fma_f64 v[132:133], v[10:11], s[14:15], -v[112:113]
	v_add_f64_e32 v[122:123], v[122:123], v[126:127]
	v_mul_f64_e32 v[10:11], s[14:15], v[10:11]
	v_add_f64_e32 v[114:115], v[118:119], v[106:107]
	v_add_f64_e64 v[116:117], v[120:121], -v[50:51]
	v_add_f64_e64 v[118:119], v[106:107], -v[118:119]
	v_add_f64_e32 v[120:121], v[50:51], v[120:121]
	v_add_f64_e64 v[50:51], v[218:219], -v[216:217]
	v_add_f64_e32 v[106:107], v[20:21], v[12:13]
	v_add_f64_e64 v[12:13], v[12:13], -v[6:7]
	v_fma_f64 v[132:133], v[110:111], s[12:13], v[132:133]
	v_fma_f64 v[10:11], v[4:5], s[22:23], -v[10:11]
	v_fma_f64 v[124:125], v[50:51], s[26:27], -v[124:125]
	v_add_f64_e32 v[106:107], v[106:107], v[6:7]
	v_fma_f64 v[130:131], v[12:13], s[14:15], -v[108:109]
	v_add_f64_e64 v[66:67], v[122:123], -v[132:133]
	v_add_f64_e64 v[6:7], v[6:7], -v[20:21]
	v_fma_f64 v[20:21], v[4:5], s[20:21], v[112:113]
	v_mul_f64_e32 v[12:13], s[14:15], v[12:13]
	v_add_f64_e32 v[124:125], v[124:125], v[128:129]
	v_fma_f64 v[130:131], v[106:107], s[12:13], v[130:131]
	v_fma_f64 v[16:17], v[6:7], s[20:21], v[108:109]
	s_delay_alu instid0(VALU_DEP_4) | instskip(NEXT) | instid1(VALU_DEP_3)
	v_fma_f64 v[6:7], v[6:7], s[22:23], -v[12:13]
	v_add_f64_e32 v[68:69], v[130:131], v[124:125]
	s_delay_alu instid0(VALU_DEP_3)
	v_fma_f64 v[12:13], v[106:107], s[12:13], v[16:17]
	scratch_store_b128 off, v[66:69], off   ; 16-byte Folded Spill
	v_add_f64_e32 v[66:67], v[132:133], v[122:123]
	v_add_f64_e64 v[68:69], v[124:125], -v[130:131]
	scratch_store_b128 off, v[66:69], off offset:16 ; 16-byte Folded Spill
	ds_store_b128 v55, v[92:95] offset:272
	ds_store_b128 v55, v[46:49] offset:544
	;; [unrolled: 1-line block ×6, first 2 shown]
	v_and_b32_e32 v38, 0xffff, v56
	s_delay_alu instid0(VALU_DEP_1) | instskip(NEXT) | instid1(VALU_DEP_1)
	v_mul_u32_u24_e32 v38, 0x77, v38
	v_add_lshl_u32 v56, v38, v57, 4
	ds_store_b128 v56, v[96:99]
	ds_store_b128 v56, v[114:117] offset:272
	ds_store_b128 v56, v[30:33] offset:544
	;; [unrolled: 1-line block ×6, first 2 shown]
	v_add_f64_e64 v[22:23], v[212:213], -v[214:215]
	v_add_f64_e64 v[24:25], v[216:217], -v[220:221]
	s_delay_alu instid0(VALU_DEP_2) | instskip(NEXT) | instid1(VALU_DEP_1)
	v_mul_f64_e32 v[4:5], s[16:17], v[22:23]
	v_fma_f64 v[14:15], v[14:15], s[18:19], -v[4:5]
	v_fma_f64 v[22:23], v[18:19], s[2:3], v[4:5]
	s_delay_alu instid0(VALU_DEP_4)
	v_mul_f64_e32 v[4:5], s[16:17], v[24:25]
	v_fma_f64 v[18:19], v[106:107], s[12:13], v[6:7]
	v_fma_f64 v[6:7], v[110:111], s[12:13], v[10:11]
	v_add_f64_e32 v[10:11], v[14:15], v[126:127]
	v_add_f64_e32 v[14:15], v[22:23], v[126:127]
	v_fma_f64 v[24:25], v[50:51], s[18:19], -v[4:5]
	v_fma_f64 v[26:27], v[104:105], s[2:3], v[4:5]
	v_fma_f64 v[4:5], v[110:111], s[12:13], v[20:21]
	v_add_f64_e64 v[22:23], v[10:11], -v[6:7]
	s_delay_alu instid0(VALU_DEP_4) | instskip(NEXT) | instid1(VALU_DEP_4)
	v_add_f64_e32 v[20:21], v[24:25], v[128:129]
	v_add_f64_e32 v[16:17], v[26:27], v[128:129]
	s_delay_alu instid0(VALU_DEP_2)
	v_add_f64_e32 v[24:25], v[18:19], v[20:21]
	scratch_store_b128 off, v[22:25], off offset:32 ; 16-byte Folded Spill
	v_add_f64_e64 v[22:23], v[14:15], -v[4:5]
	v_add_f64_e32 v[24:25], v[12:13], v[16:17]
	scratch_store_b128 off, v[22:25], off offset:48 ; 16-byte Folded Spill
	s_and_saveexec_b32 s2, vcc_lo
	s_cbranch_execz .LBB0_5
; %bb.4:
	v_add_f64_e64 v[18:19], v[20:21], -v[18:19]
	v_add_f64_e32 v[20:21], v[4:5], v[14:15]
	s_clause 0x1
	scratch_load_b32 v4, off, off offset:344
	scratch_load_b32 v5, off, off offset:352
	v_add_f64_e64 v[22:23], v[16:17], -v[12:13]
	v_add_f64_e32 v[16:17], v[6:7], v[10:11]
	scratch_load_b128 v[10:13], off, off offset:16 ; 16-byte Folded Reload
	s_wait_loadcnt 0x1
	v_mad_u16 v4, 0x77, v4, v5
	s_delay_alu instid0(VALU_DEP_1) | instskip(NEXT) | instid1(VALU_DEP_1)
	v_and_b32_e32 v4, 0xffff, v4
	v_lshlrev_b32_e32 v4, 4, v4
	s_wait_loadcnt 0x0
	ds_store_b128 v4, v[10:13] offset:1088
	scratch_load_b128 v[10:13], off, off offset:32 ; 16-byte Folded Reload
	s_wait_loadcnt 0x0
	ds_store_b128 v4, v[10:13] offset:1360
	ds_store_b128 v4, v[0:3]
	ds_store_b128 v4, v[20:23] offset:272
	ds_store_b128 v4, v[16:19] offset:544
	scratch_load_b128 v[0:3], off, off      ; 16-byte Folded Reload
	s_wait_loadcnt 0x0
	ds_store_b128 v4, v[0:3] offset:816
	scratch_load_b128 v[0:3], off, off offset:48 ; 16-byte Folded Reload
	s_wait_loadcnt 0x0
	ds_store_b128 v4, v[0:3] offset:1632
.LBB0_5:
	s_wait_alu 0xfffe
	s_or_b32 exec_lo, exec_lo, s2
	v_lshlrev_b32_e32 v32, 8, v65
	global_wb scope:SCOPE_SE
	s_wait_storecnt_dscnt 0x0
	s_barrier_signal -1
	s_barrier_wait -1
	global_inv scope:SCOPE_SE
	ds_load_b128 v[224:227], v62
	ds_load_b128 v[0:3], v62 offset:1904
	ds_load_b128 v[4:7], v62 offset:3808
	;; [unrolled: 1-line block ×16, first 2 shown]
	s_clause 0xb
	global_load_b128 v[92:95], v32, s[10:11] offset:1680
	global_load_b128 v[100:103], v32, s[10:11] offset:1664
	;; [unrolled: 1-line block ×12, first 2 shown]
	s_add_nc_u64 s[56:57], s[8:9], 0x7e70
	s_mov_b32 s28, 0x5d8e7cdc
	s_mov_b32 s20, 0x2a9d6da3
	;; [unrolled: 1-line block ×31, first 2 shown]
	s_wait_alu 0xfffe
	s_mov_b32 s42, s36
	s_mov_b32 s31, 0x3feec746
	;; [unrolled: 1-line block ×12, first 2 shown]
	s_wait_loadcnt_dscnt 0x304
	v_mul_f64_e32 v[28:29], v[154:155], v[98:99]
	v_mul_f64_e32 v[22:23], v[2:3], v[142:143]
	s_delay_alu instid0(VALU_DEP_2) | instskip(NEXT) | instid1(VALU_DEP_2)
	v_fma_f64 v[228:229], v[152:153], v[96:97], -v[28:29]
	v_fma_f64 v[248:249], v[0:1], v[140:141], -v[22:23]
	v_mul_f64_e32 v[0:1], v[0:1], v[142:143]
	v_mul_f64_e32 v[28:29], v[152:153], v[98:99]
	s_delay_alu instid0(VALU_DEP_2) | instskip(SKIP_1) | instid1(VALU_DEP_3)
	v_fma_f64 v[250:251], v[2:3], v[140:141], v[0:1]
	v_mul_f64_e32 v[0:1], v[6:7], v[110:111]
	v_fma_f64 v[28:29], v[154:155], v[96:97], v[28:29]
	s_wait_loadcnt 0x0
	v_mul_f64_e32 v[2:3], v[59:60], v[134:135]
	s_delay_alu instid0(VALU_DEP_3) | instskip(SKIP_1) | instid1(VALU_DEP_1)
	v_fma_f64 v[42:43], v[4:5], v[108:109], -v[0:1]
	v_mul_f64_e32 v[0:1], v[4:5], v[110:111]
	v_fma_f64 v[40:41], v[6:7], v[108:109], v[0:1]
	v_mul_f64_e32 v[0:1], v[12:13], v[102:103]
	v_fma_f64 v[6:7], v[57:58], v[132:133], -v[2:3]
	v_mul_f64_e32 v[2:3], v[57:58], v[134:135]
	s_delay_alu instid0(VALU_DEP_3) | instskip(SKIP_1) | instid1(VALU_DEP_3)
	v_fma_f64 v[234:235], v[10:11], v[100:101], -v[0:1]
	v_mul_f64_e32 v[0:1], v[10:11], v[102:103]
	v_fma_f64 v[2:3], v[59:60], v[132:133], v[2:3]
	v_add_f64_e32 v[59:60], v[224:225], v[248:249]
	s_delay_alu instid0(VALU_DEP_3) | instskip(SKIP_2) | instid1(VALU_DEP_4)
	v_fma_f64 v[34:35], v[12:13], v[100:101], v[0:1]
	v_mul_f64_e32 v[0:1], v[16:17], v[94:95]
	v_mul_f64_e32 v[12:13], v[118:119], v[126:127]
	v_add_f64_e32 v[59:60], v[59:60], v[42:43]
	s_delay_alu instid0(VALU_DEP_3) | instskip(SKIP_1) | instid1(VALU_DEP_3)
	v_fma_f64 v[232:233], v[14:15], v[92:93], -v[0:1]
	v_mul_f64_e32 v[0:1], v[14:15], v[94:95]
	v_add_f64_e32 v[59:60], v[59:60], v[234:235]
	s_delay_alu instid0(VALU_DEP_2) | instskip(SKIP_4) | instid1(VALU_DEP_4)
	v_fma_f64 v[230:231], v[16:17], v[92:93], v[0:1]
	v_mul_f64_e32 v[0:1], v[20:21], v[138:139]
	v_fma_f64 v[16:17], v[116:117], v[124:125], -v[12:13]
	v_mul_f64_e32 v[12:13], v[116:117], v[126:127]
	v_add_f64_e32 v[59:60], v[59:60], v[232:233]
	v_fma_f64 v[30:31], v[18:19], v[136:137], -v[0:1]
	v_mul_f64_e32 v[0:1], v[18:19], v[138:139]
	s_delay_alu instid0(VALU_DEP_4) | instskip(NEXT) | instid1(VALU_DEP_3)
	v_fma_f64 v[12:13], v[118:119], v[124:125], v[12:13]
	v_add_f64_e32 v[59:60], v[59:60], v[30:31]
	s_delay_alu instid0(VALU_DEP_3) | instskip(SKIP_2) | instid1(VALU_DEP_2)
	v_fma_f64 v[26:27], v[20:21], v[136:137], v[0:1]
	v_mul_f64_e32 v[20:21], v[146:147], v[106:107]
	v_mul_f64_e32 v[0:1], v[38:39], v[130:131]
	v_fma_f64 v[24:25], v[144:145], v[104:105], -v[20:21]
	v_mul_f64_e32 v[20:21], v[144:145], v[106:107]
	s_delay_alu instid0(VALU_DEP_3) | instskip(SKIP_1) | instid1(VALU_DEP_3)
	v_fma_f64 v[22:23], v[36:37], v[128:129], -v[0:1]
	v_mul_f64_e32 v[0:1], v[36:37], v[130:131]
	v_fma_f64 v[20:21], v[146:147], v[104:105], v[20:21]
	s_clause 0x3
	global_load_b128 v[152:155], v32, s[10:11] offset:1872
	global_load_b128 v[144:147], v32, s[10:11] offset:1856
	global_load_b128 v[116:119], v32, s[10:11] offset:1840
	global_load_b128 v[156:159], v32, s[10:11] offset:1824
	v_fma_f64 v[18:19], v[38:39], v[128:129], v[0:1]
	v_mul_f64_e32 v[0:1], v[46:47], v[122:123]
	v_add_f64_e32 v[59:60], v[59:60], v[22:23]
	s_mov_b32 s10, 0x923c349f
	s_mov_b32 s11, 0xbfeec746
	;; [unrolled: 1-line block ×3, first 2 shown]
	s_delay_alu instid0(VALU_DEP_2) | instskip(SKIP_1) | instid1(VALU_DEP_2)
	v_fma_f64 v[14:15], v[44:45], v[120:121], -v[0:1]
	v_mul_f64_e32 v[0:1], v[44:45], v[122:123]
	v_add_f64_e32 v[59:60], v[59:60], v[14:15]
	s_delay_alu instid0(VALU_DEP_2) | instskip(SKIP_1) | instid1(VALU_DEP_1)
	v_fma_f64 v[10:11], v[46:47], v[120:121], v[0:1]
	v_mul_f64_e32 v[0:1], v[50:51], v[114:115]
	v_fma_f64 v[4:5], v[48:49], v[112:113], -v[0:1]
	v_mul_f64_e32 v[0:1], v[48:49], v[114:115]
	s_delay_alu instid0(VALU_DEP_2) | instskip(NEXT) | instid1(VALU_DEP_2)
	v_add_f64_e32 v[59:60], v[59:60], v[4:5]
	v_fma_f64 v[0:1], v[50:51], v[112:113], v[0:1]
	s_delay_alu instid0(VALU_DEP_2) | instskip(NEXT) | instid1(VALU_DEP_1)
	v_add_f64_e32 v[59:60], v[59:60], v[6:7]
	v_add_f64_e32 v[59:60], v[59:60], v[16:17]
	s_delay_alu instid0(VALU_DEP_1) | instskip(NEXT) | instid1(VALU_DEP_1)
	v_add_f64_e32 v[59:60], v[59:60], v[24:25]
	v_add_f64_e32 v[59:60], v[59:60], v[228:229]
	s_wait_loadcnt_dscnt 0x300
	v_mul_f64_e32 v[50:51], v[222:223], v[154:155]
	v_mul_f64_e32 v[57:58], v[220:221], v[154:155]
	s_wait_loadcnt 0x1
	v_mul_f64_e32 v[38:39], v[242:243], v[118:119]
	s_wait_loadcnt 0x0
	v_mul_f64_e32 v[32:33], v[238:239], v[158:159]
	v_mul_f64_e32 v[46:47], v[246:247], v[146:147]
	v_fma_f64 v[50:51], v[220:221], v[152:153], -v[50:51]
	v_add_f64_e32 v[220:221], v[226:227], v[250:251]
	v_fma_f64 v[44:45], v[240:241], v[116:117], -v[38:39]
	v_fma_f64 v[36:37], v[236:237], v[156:157], -v[32:33]
	v_mul_f64_e32 v[32:33], v[236:237], v[158:159]
	v_mul_f64_e32 v[38:39], v[240:241], v[118:119]
	v_fma_f64 v[48:49], v[244:245], v[144:145], -v[46:47]
	v_mul_f64_e32 v[46:47], v[244:245], v[146:147]
	v_fma_f64 v[57:58], v[222:223], v[152:153], v[57:58]
	v_add_f64_e32 v[220:221], v[220:221], v[40:41]
	v_add_f64_e32 v[59:60], v[59:60], v[36:37]
	v_fma_f64 v[32:33], v[238:239], v[156:157], v[32:33]
	v_fma_f64 v[38:39], v[242:243], v[116:117], v[38:39]
	v_fma_f64 v[46:47], v[246:247], v[144:145], v[46:47]
	v_add_f64_e32 v[236:237], v[250:251], v[57:58]
	v_add_f64_e32 v[220:221], v[220:221], v[34:35]
	;; [unrolled: 1-line block ×3, first 2 shown]
	s_delay_alu instid0(VALU_DEP_2) | instskip(NEXT) | instid1(VALU_DEP_2)
	v_add_f64_e32 v[220:221], v[220:221], v[230:231]
	v_add_f64_e32 v[59:60], v[59:60], v[48:49]
	s_delay_alu instid0(VALU_DEP_2) | instskip(NEXT) | instid1(VALU_DEP_2)
	v_add_f64_e32 v[220:221], v[220:221], v[26:27]
	v_add_f64_e32 v[66:67], v[59:60], v[50:51]
	;; [unrolled: 1-line block ×3, first 2 shown]
	v_add_f64_e64 v[50:51], v[248:249], -v[50:51]
	s_delay_alu instid0(VALU_DEP_4) | instskip(NEXT) | instid1(VALU_DEP_2)
	v_add_f64_e32 v[220:221], v[220:221], v[18:19]
	v_mul_f64_e32 v[242:243], s[28:29], v[50:51]
	v_mul_f64_e32 v[63:64], s[16:17], v[50:51]
	;; [unrolled: 1-line block ×6, first 2 shown]
	v_add_f64_e32 v[220:221], v[220:221], v[10:11]
	v_fma_f64 v[244:245], v[236:237], s[26:27], v[242:243]
	v_fma_f64 v[242:243], v[236:237], s[26:27], -v[242:243]
	v_fma_f64 v[210:211], v[236:237], s[2:3], v[208:209]
	v_fma_f64 v[208:209], v[236:237], s[2:3], -v[208:209]
	;; [unrolled: 2-line block ×5, first 2 shown]
	v_add_f64_e32 v[220:221], v[220:221], v[0:1]
	v_add_f64_e32 v[244:245], v[226:227], v[244:245]
	;; [unrolled: 1-line block ×12, first 2 shown]
	s_delay_alu instid0(VALU_DEP_1) | instskip(NEXT) | instid1(VALU_DEP_1)
	v_add_f64_e32 v[220:221], v[220:221], v[12:13]
	v_add_f64_e32 v[220:221], v[220:221], v[20:21]
	s_delay_alu instid0(VALU_DEP_1) | instskip(NEXT) | instid1(VALU_DEP_1)
	v_add_f64_e32 v[220:221], v[220:221], v[28:29]
	v_add_f64_e32 v[220:221], v[220:221], v[32:33]
	;; [unrolled: 3-line block ×3, first 2 shown]
	s_delay_alu instid0(VALU_DEP_1)
	v_add_f64_e32 v[68:69], v[222:223], v[57:58]
	v_add_f64_e64 v[57:58], v[250:251], -v[57:58]
	v_mul_f64_e32 v[250:251], s[20:21], v[50:51]
	v_mul_f64_e32 v[50:51], s[40:41], v[50:51]
	scratch_store_b128 off, v[66:69], off offset:360 ; 16-byte Folded Spill
	v_mul_f64_e32 v[238:239], s[28:29], v[57:58]
	v_mul_f64_e32 v[246:247], s[20:21], v[57:58]
	v_mul_f64_e32 v[254:255], s[16:17], v[57:58]
	v_mul_f64_e32 v[204:205], s[8:9], v[57:58]
	v_mul_f64_e32 v[212:213], s[10:11], v[57:58]
	v_mul_f64_e32 v[68:69], s[22:23], v[57:58]
	v_mul_f64_e32 v[76:77], s[36:37], v[57:58]
	v_mul_f64_e32 v[57:58], s[40:41], v[57:58]
	v_fma_f64 v[252:253], v[236:237], s[18:19], v[250:251]
	v_fma_f64 v[250:251], v[236:237], s[18:19], -v[250:251]
	v_fma_f64 v[66:67], v[236:237], s[14:15], v[63:64]
	v_fma_f64 v[63:64], v[236:237], s[14:15], -v[63:64]
	;; [unrolled: 2-line block ×3, first 2 shown]
	v_fma_f64 v[240:241], v[59:60], s[26:27], -v[238:239]
	v_fma_f64 v[238:239], v[59:60], s[26:27], v[238:239]
	v_fma_f64 v[248:249], v[59:60], s[18:19], -v[246:247]
	v_fma_f64 v[246:247], v[59:60], s[18:19], v[246:247]
	;; [unrolled: 2-line block ×8, first 2 shown]
	v_add_f64_e32 v[59:60], v[42:43], v[48:49]
	v_add_f64_e64 v[42:43], v[42:43], -v[48:49]
	v_add_f64_e32 v[252:253], v[226:227], v[252:253]
	v_add_f64_e32 v[250:251], v[226:227], v[250:251]
	;; [unrolled: 1-line block ×23, first 2 shown]
	v_add_f64_e64 v[40:41], v[40:41], -v[46:47]
	v_mul_f64_e32 v[226:227], s[20:21], v[42:43]
	s_delay_alu instid0(VALU_DEP_2) | instskip(NEXT) | instid1(VALU_DEP_2)
	v_mul_f64_e32 v[46:47], s[20:21], v[40:41]
	v_fma_f64 v[236:237], v[224:225], s[18:19], v[226:227]
	v_fma_f64 v[226:227], v[224:225], s[18:19], -v[226:227]
	s_delay_alu instid0(VALU_DEP_3) | instskip(SKIP_1) | instid1(VALU_DEP_3)
	v_fma_f64 v[48:49], v[59:60], s[18:19], -v[46:47]
	v_fma_f64 v[46:47], v[59:60], s[18:19], v[46:47]
	v_add_f64_e32 v[226:227], v[226:227], v[242:243]
	v_mul_f64_e32 v[242:243], s[8:9], v[42:43]
	v_add_f64_e32 v[236:237], v[236:237], v[244:245]
	v_add_f64_e32 v[48:49], v[48:49], v[240:241]
	;; [unrolled: 1-line block ×3, first 2 shown]
	v_mul_f64_e32 v[238:239], s[8:9], v[40:41]
	v_fma_f64 v[244:245], v[224:225], s[2:3], v[242:243]
	v_fma_f64 v[242:243], v[224:225], s[2:3], -v[242:243]
	s_delay_alu instid0(VALU_DEP_3) | instskip(SKIP_1) | instid1(VALU_DEP_3)
	v_fma_f64 v[240:241], v[59:60], s[2:3], -v[238:239]
	v_fma_f64 v[238:239], v[59:60], s[2:3], v[238:239]
	v_add_f64_e32 v[242:243], v[242:243], v[250:251]
	v_add_f64_e32 v[244:245], v[244:245], v[252:253]
	s_delay_alu instid0(VALU_DEP_4) | instskip(NEXT) | instid1(VALU_DEP_4)
	v_add_f64_e32 v[240:241], v[240:241], v[248:249]
	v_add_f64_e32 v[238:239], v[238:239], v[246:247]
	v_mul_f64_e32 v[246:247], s[22:23], v[40:41]
	s_delay_alu instid0(VALU_DEP_1) | instskip(SKIP_1) | instid1(VALU_DEP_2)
	v_fma_f64 v[248:249], v[59:60], s[24:25], -v[246:247]
	v_fma_f64 v[246:247], v[59:60], s[24:25], v[246:247]
	v_add_f64_e32 v[52:53], v[248:249], v[52:53]
	v_mul_f64_e32 v[248:249], s[22:23], v[42:43]
	s_delay_alu instid0(VALU_DEP_3) | instskip(NEXT) | instid1(VALU_DEP_2)
	v_add_f64_e32 v[246:247], v[246:247], v[254:255]
	v_fma_f64 v[250:251], v[224:225], s[24:25], v[248:249]
	v_fma_f64 v[248:249], v[224:225], s[24:25], -v[248:249]
	s_delay_alu instid0(VALU_DEP_2) | instskip(NEXT) | instid1(VALU_DEP_2)
	v_add_f64_e32 v[66:67], v[250:251], v[66:67]
	v_add_f64_e32 v[63:64], v[248:249], v[63:64]
	v_mul_f64_e32 v[248:249], s[40:41], v[40:41]
	s_delay_alu instid0(VALU_DEP_1) | instskip(SKIP_1) | instid1(VALU_DEP_2)
	v_fma_f64 v[250:251], v[59:60], s[44:45], -v[248:249]
	v_fma_f64 v[248:249], v[59:60], s[44:45], v[248:249]
	v_add_f64_e32 v[206:207], v[250:251], v[206:207]
	v_mul_f64_e32 v[250:251], s[40:41], v[42:43]
	s_delay_alu instid0(VALU_DEP_3) | instskip(NEXT) | instid1(VALU_DEP_2)
	v_add_f64_e32 v[204:205], v[248:249], v[204:205]
	v_fma_f64 v[248:249], v[224:225], s[44:45], -v[250:251]
	v_fma_f64 v[252:253], v[224:225], s[44:45], v[250:251]
	s_delay_alu instid0(VALU_DEP_2) | instskip(SKIP_2) | instid1(VALU_DEP_3)
	v_add_f64_e32 v[208:209], v[248:249], v[208:209]
	s_wait_alu 0xfffe
	v_mul_f64_e32 v[248:249], s[42:43], v[40:41]
	v_add_f64_e32 v[210:211], v[252:253], v[210:211]
	s_delay_alu instid0(VALU_DEP_2) | instskip(SKIP_1) | instid1(VALU_DEP_2)
	v_fma_f64 v[250:251], v[59:60], s[38:39], -v[248:249]
	v_fma_f64 v[248:249], v[59:60], s[38:39], v[248:249]
	v_add_f64_e32 v[214:215], v[250:251], v[214:215]
	v_mul_f64_e32 v[250:251], s[42:43], v[42:43]
	s_delay_alu instid0(VALU_DEP_3) | instskip(NEXT) | instid1(VALU_DEP_2)
	v_add_f64_e32 v[212:213], v[248:249], v[212:213]
	v_fma_f64 v[248:249], v[224:225], s[38:39], -v[250:251]
	v_fma_f64 v[252:253], v[224:225], s[38:39], v[250:251]
	s_delay_alu instid0(VALU_DEP_2) | instskip(SKIP_1) | instid1(VALU_DEP_3)
	v_add_f64_e32 v[216:217], v[248:249], v[216:217]
	v_mul_f64_e32 v[248:249], s[30:31], v[40:41]
	v_add_f64_e32 v[218:219], v[252:253], v[218:219]
	s_delay_alu instid0(VALU_DEP_2) | instskip(SKIP_1) | instid1(VALU_DEP_2)
	v_fma_f64 v[250:251], v[59:60], s[12:13], -v[248:249]
	v_fma_f64 v[248:249], v[59:60], s[12:13], v[248:249]
	v_add_f64_e32 v[70:71], v[250:251], v[70:71]
	v_mul_f64_e32 v[250:251], s[30:31], v[42:43]
	s_delay_alu instid0(VALU_DEP_3) | instskip(NEXT) | instid1(VALU_DEP_2)
	v_add_f64_e32 v[68:69], v[248:249], v[68:69]
	v_fma_f64 v[248:249], v[224:225], s[12:13], -v[250:251]
	v_fma_f64 v[252:253], v[224:225], s[12:13], v[250:251]
	s_delay_alu instid0(VALU_DEP_2) | instskip(SKIP_2) | instid1(VALU_DEP_4)
	v_add_f64_e32 v[72:73], v[248:249], v[72:73]
	v_mul_f64_e32 v[248:249], s[34:35], v[40:41]
	v_mul_f64_e32 v[40:41], s[46:47], v[40:41]
	v_add_f64_e32 v[74:75], v[252:253], v[74:75]
	s_delay_alu instid0(VALU_DEP_3) | instskip(SKIP_1) | instid1(VALU_DEP_2)
	v_fma_f64 v[250:251], v[59:60], s[14:15], -v[248:249]
	v_fma_f64 v[248:249], v[59:60], s[14:15], v[248:249]
	v_add_f64_e32 v[78:79], v[250:251], v[78:79]
	v_mul_f64_e32 v[250:251], s[34:35], v[42:43]
	s_delay_alu instid0(VALU_DEP_3) | instskip(SKIP_1) | instid1(VALU_DEP_3)
	v_add_f64_e32 v[76:77], v[248:249], v[76:77]
	v_mul_f64_e32 v[42:43], s[46:47], v[42:43]
	v_fma_f64 v[248:249], v[224:225], s[14:15], -v[250:251]
	v_fma_f64 v[252:253], v[224:225], s[14:15], v[250:251]
	s_delay_alu instid0(VALU_DEP_2) | instskip(SKIP_2) | instid1(VALU_DEP_4)
	v_add_f64_e32 v[80:81], v[248:249], v[80:81]
	v_fma_f64 v[248:249], v[59:60], s[26:27], -v[40:41]
	v_fma_f64 v[40:41], v[59:60], s[26:27], v[40:41]
	v_add_f64_e32 v[82:83], v[252:253], v[82:83]
	s_delay_alu instid0(VALU_DEP_3) | instskip(SKIP_1) | instid1(VALU_DEP_4)
	v_add_f64_e32 v[220:221], v[248:249], v[220:221]
	v_fma_f64 v[248:249], v[224:225], s[26:27], v[42:43]
	v_add_f64_e32 v[40:41], v[40:41], v[57:58]
	v_fma_f64 v[42:43], v[224:225], s[26:27], -v[42:43]
	v_add_f64_e32 v[57:58], v[34:35], v[38:39]
	v_add_f64_e64 v[34:35], v[34:35], -v[38:39]
	v_add_f64_e32 v[222:223], v[248:249], v[222:223]
	s_delay_alu instid0(VALU_DEP_4) | instskip(SKIP_1) | instid1(VALU_DEP_4)
	v_add_f64_e32 v[42:43], v[42:43], v[50:51]
	v_add_f64_e32 v[50:51], v[234:235], v[44:45]
	v_mul_f64_e32 v[38:39], s[16:17], v[34:35]
	v_add_f64_e64 v[44:45], v[234:235], -v[44:45]
	s_delay_alu instid0(VALU_DEP_2) | instskip(SKIP_1) | instid1(VALU_DEP_3)
	v_fma_f64 v[59:60], v[50:51], s[14:15], -v[38:39]
	v_fma_f64 v[38:39], v[50:51], s[14:15], v[38:39]
	v_mul_f64_e32 v[234:235], s[22:23], v[44:45]
	s_delay_alu instid0(VALU_DEP_3) | instskip(SKIP_1) | instid1(VALU_DEP_4)
	v_add_f64_e32 v[48:49], v[59:60], v[48:49]
	v_mul_f64_e32 v[59:60], s[16:17], v[44:45]
	v_add_f64_e32 v[38:39], v[38:39], v[46:47]
	s_delay_alu instid0(VALU_DEP_2) | instskip(SKIP_2) | instid1(VALU_DEP_3)
	v_fma_f64 v[224:225], v[57:58], s[14:15], v[59:60]
	v_fma_f64 v[46:47], v[57:58], s[14:15], -v[59:60]
	v_mul_f64_e32 v[59:60], s[22:23], v[34:35]
	v_add_f64_e32 v[224:225], v[224:225], v[236:237]
	s_delay_alu instid0(VALU_DEP_3) | instskip(NEXT) | instid1(VALU_DEP_3)
	v_add_f64_e32 v[46:47], v[46:47], v[226:227]
	v_fma_f64 v[226:227], v[50:51], s[24:25], -v[59:60]
	v_fma_f64 v[59:60], v[50:51], s[24:25], v[59:60]
	v_fma_f64 v[236:237], v[57:58], s[24:25], v[234:235]
	v_fma_f64 v[234:235], v[57:58], s[24:25], -v[234:235]
	s_delay_alu instid0(VALU_DEP_4) | instskip(NEXT) | instid1(VALU_DEP_4)
	v_add_f64_e32 v[226:227], v[226:227], v[240:241]
	v_add_f64_e32 v[59:60], v[59:60], v[238:239]
	v_mul_f64_e32 v[238:239], s[52:53], v[34:35]
	s_delay_alu instid0(VALU_DEP_4) | instskip(SKIP_1) | instid1(VALU_DEP_3)
	v_add_f64_e32 v[234:235], v[234:235], v[242:243]
	v_add_f64_e32 v[236:237], v[236:237], v[244:245]
	v_fma_f64 v[240:241], v[50:51], s[44:45], -v[238:239]
	v_fma_f64 v[238:239], v[50:51], s[44:45], v[238:239]
	s_delay_alu instid0(VALU_DEP_2) | instskip(SKIP_1) | instid1(VALU_DEP_3)
	v_add_f64_e32 v[52:53], v[240:241], v[52:53]
	v_mul_f64_e32 v[240:241], s[52:53], v[44:45]
	v_add_f64_e32 v[238:239], v[238:239], v[246:247]
	s_delay_alu instid0(VALU_DEP_2) | instskip(SKIP_1) | instid1(VALU_DEP_2)
	v_fma_f64 v[242:243], v[57:58], s[44:45], v[240:241]
	v_fma_f64 v[240:241], v[57:58], s[44:45], -v[240:241]
	v_add_f64_e32 v[66:67], v[242:243], v[66:67]
	s_delay_alu instid0(VALU_DEP_2) | instskip(SKIP_1) | instid1(VALU_DEP_1)
	v_add_f64_e32 v[63:64], v[240:241], v[63:64]
	v_mul_f64_e32 v[240:241], s[30:31], v[34:35]
	v_fma_f64 v[242:243], v[50:51], s[12:13], -v[240:241]
	v_fma_f64 v[240:241], v[50:51], s[12:13], v[240:241]
	s_delay_alu instid0(VALU_DEP_2) | instskip(SKIP_1) | instid1(VALU_DEP_3)
	v_add_f64_e32 v[206:207], v[242:243], v[206:207]
	v_mul_f64_e32 v[242:243], s[30:31], v[44:45]
	v_add_f64_e32 v[204:205], v[240:241], v[204:205]
	s_delay_alu instid0(VALU_DEP_2) | instskip(SKIP_1) | instid1(VALU_DEP_2)
	v_fma_f64 v[240:241], v[57:58], s[12:13], -v[242:243]
	v_fma_f64 v[244:245], v[57:58], s[12:13], v[242:243]
	v_add_f64_e32 v[208:209], v[240:241], v[208:209]
	v_mul_f64_e32 v[240:241], s[48:49], v[34:35]
	s_delay_alu instid0(VALU_DEP_3) | instskip(NEXT) | instid1(VALU_DEP_2)
	v_add_f64_e32 v[210:211], v[244:245], v[210:211]
	v_fma_f64 v[242:243], v[50:51], s[18:19], -v[240:241]
	v_fma_f64 v[240:241], v[50:51], s[18:19], v[240:241]
	s_delay_alu instid0(VALU_DEP_2) | instskip(SKIP_1) | instid1(VALU_DEP_3)
	v_add_f64_e32 v[214:215], v[242:243], v[214:215]
	v_mul_f64_e32 v[242:243], s[48:49], v[44:45]
	v_add_f64_e32 v[212:213], v[240:241], v[212:213]
	s_delay_alu instid0(VALU_DEP_2) | instskip(SKIP_1) | instid1(VALU_DEP_2)
	v_fma_f64 v[240:241], v[57:58], s[18:19], -v[242:243]
	v_fma_f64 v[244:245], v[57:58], s[18:19], v[242:243]
	v_add_f64_e32 v[216:217], v[240:241], v[216:217]
	v_mul_f64_e32 v[240:241], s[28:29], v[34:35]
	s_delay_alu instid0(VALU_DEP_3) | instskip(NEXT) | instid1(VALU_DEP_2)
	v_add_f64_e32 v[218:219], v[244:245], v[218:219]
	v_fma_f64 v[242:243], v[50:51], s[26:27], -v[240:241]
	v_fma_f64 v[240:241], v[50:51], s[26:27], v[240:241]
	s_delay_alu instid0(VALU_DEP_2) | instskip(SKIP_1) | instid1(VALU_DEP_3)
	v_add_f64_e32 v[70:71], v[242:243], v[70:71]
	v_mul_f64_e32 v[242:243], s[28:29], v[44:45]
	v_add_f64_e32 v[68:69], v[240:241], v[68:69]
	s_delay_alu instid0(VALU_DEP_2) | instskip(SKIP_1) | instid1(VALU_DEP_2)
	v_fma_f64 v[240:241], v[57:58], s[26:27], -v[242:243]
	v_fma_f64 v[244:245], v[57:58], s[26:27], v[242:243]
	v_add_f64_e32 v[72:73], v[240:241], v[72:73]
	v_mul_f64_e32 v[240:241], s[8:9], v[34:35]
	v_mul_f64_e32 v[34:35], s[36:37], v[34:35]
	s_delay_alu instid0(VALU_DEP_4) | instskip(NEXT) | instid1(VALU_DEP_3)
	v_add_f64_e32 v[74:75], v[244:245], v[74:75]
	v_fma_f64 v[242:243], v[50:51], s[2:3], -v[240:241]
	v_fma_f64 v[240:241], v[50:51], s[2:3], v[240:241]
	s_delay_alu instid0(VALU_DEP_2) | instskip(SKIP_1) | instid1(VALU_DEP_3)
	v_add_f64_e32 v[78:79], v[242:243], v[78:79]
	v_mul_f64_e32 v[242:243], s[8:9], v[44:45]
	v_add_f64_e32 v[76:77], v[240:241], v[76:77]
	v_mul_f64_e32 v[44:45], s[36:37], v[44:45]
	s_delay_alu instid0(VALU_DEP_3) | instskip(SKIP_1) | instid1(VALU_DEP_2)
	v_fma_f64 v[240:241], v[57:58], s[2:3], -v[242:243]
	v_fma_f64 v[244:245], v[57:58], s[2:3], v[242:243]
	v_add_f64_e32 v[80:81], v[240:241], v[80:81]
	v_fma_f64 v[240:241], v[50:51], s[38:39], -v[34:35]
	v_fma_f64 v[34:35], v[50:51], s[38:39], v[34:35]
	s_delay_alu instid0(VALU_DEP_4) | instskip(NEXT) | instid1(VALU_DEP_3)
	v_add_f64_e32 v[82:83], v[244:245], v[82:83]
	v_add_f64_e32 v[220:221], v[240:241], v[220:221]
	v_fma_f64 v[240:241], v[57:58], s[38:39], v[44:45]
	s_delay_alu instid0(VALU_DEP_4) | instskip(SKIP_4) | instid1(VALU_DEP_4)
	v_add_f64_e32 v[34:35], v[34:35], v[40:41]
	v_fma_f64 v[40:41], v[57:58], s[38:39], -v[44:45]
	v_add_f64_e32 v[44:45], v[230:231], v[32:33]
	v_add_f64_e64 v[32:33], v[230:231], -v[32:33]
	v_add_f64_e32 v[222:223], v[240:241], v[222:223]
	v_add_f64_e32 v[40:41], v[40:41], v[42:43]
	v_add_f64_e32 v[42:43], v[232:233], v[36:37]
	s_delay_alu instid0(VALU_DEP_4) | instskip(SKIP_1) | instid1(VALU_DEP_2)
	v_mul_f64_e32 v[50:51], s[8:9], v[32:33]
	v_add_f64_e64 v[36:37], v[232:233], -v[36:37]
	v_fma_f64 v[57:58], v[42:43], s[2:3], -v[50:51]
	v_fma_f64 v[50:51], v[42:43], s[2:3], v[50:51]
	s_delay_alu instid0(VALU_DEP_2) | instskip(NEXT) | instid1(VALU_DEP_4)
	v_add_f64_e32 v[48:49], v[57:58], v[48:49]
	v_mul_f64_e32 v[57:58], s[8:9], v[36:37]
	s_delay_alu instid0(VALU_DEP_3) | instskip(NEXT) | instid1(VALU_DEP_2)
	v_add_f64_e32 v[38:39], v[50:51], v[38:39]
	v_fma_f64 v[50:51], v[44:45], s[2:3], -v[57:58]
	v_fma_f64 v[230:231], v[44:45], s[2:3], v[57:58]
	s_delay_alu instid0(VALU_DEP_2) | instskip(SKIP_1) | instid1(VALU_DEP_3)
	v_add_f64_e32 v[46:47], v[50:51], v[46:47]
	v_mul_f64_e32 v[50:51], s[40:41], v[32:33]
	v_add_f64_e32 v[224:225], v[230:231], v[224:225]
	s_delay_alu instid0(VALU_DEP_2) | instskip(SKIP_1) | instid1(VALU_DEP_2)
	v_fma_f64 v[57:58], v[42:43], s[44:45], -v[50:51]
	v_fma_f64 v[50:51], v[42:43], s[44:45], v[50:51]
	v_add_f64_e32 v[57:58], v[57:58], v[226:227]
	v_mul_f64_e32 v[226:227], s[40:41], v[36:37]
	s_delay_alu instid0(VALU_DEP_3) | instskip(NEXT) | instid1(VALU_DEP_2)
	v_add_f64_e32 v[50:51], v[50:51], v[59:60]
	v_fma_f64 v[230:231], v[44:45], s[44:45], v[226:227]
	v_fma_f64 v[59:60], v[44:45], s[44:45], -v[226:227]
	v_mul_f64_e32 v[226:227], s[30:31], v[32:33]
	s_delay_alu instid0(VALU_DEP_3) | instskip(NEXT) | instid1(VALU_DEP_3)
	v_add_f64_e32 v[230:231], v[230:231], v[236:237]
	v_add_f64_e32 v[59:60], v[59:60], v[234:235]
	s_delay_alu instid0(VALU_DEP_3) | instskip(SKIP_1) | instid1(VALU_DEP_2)
	v_fma_f64 v[232:233], v[42:43], s[12:13], -v[226:227]
	v_fma_f64 v[226:227], v[42:43], s[12:13], v[226:227]
	v_add_f64_e32 v[52:53], v[232:233], v[52:53]
	v_mul_f64_e32 v[232:233], s[30:31], v[36:37]
	s_delay_alu instid0(VALU_DEP_3) | instskip(NEXT) | instid1(VALU_DEP_2)
	v_add_f64_e32 v[226:227], v[226:227], v[238:239]
	v_fma_f64 v[234:235], v[44:45], s[12:13], v[232:233]
	v_fma_f64 v[232:233], v[44:45], s[12:13], -v[232:233]
	s_delay_alu instid0(VALU_DEP_2) | instskip(NEXT) | instid1(VALU_DEP_2)
	v_add_f64_e32 v[66:67], v[234:235], v[66:67]
	v_add_f64_e32 v[63:64], v[232:233], v[63:64]
	v_mul_f64_e32 v[232:233], s[46:47], v[32:33]
	s_delay_alu instid0(VALU_DEP_1) | instskip(SKIP_1) | instid1(VALU_DEP_2)
	v_fma_f64 v[234:235], v[42:43], s[26:27], -v[232:233]
	v_fma_f64 v[232:233], v[42:43], s[26:27], v[232:233]
	v_add_f64_e32 v[206:207], v[234:235], v[206:207]
	v_mul_f64_e32 v[234:235], s[46:47], v[36:37]
	s_delay_alu instid0(VALU_DEP_3) | instskip(NEXT) | instid1(VALU_DEP_2)
	v_add_f64_e32 v[204:205], v[232:233], v[204:205]
	v_fma_f64 v[232:233], v[44:45], s[26:27], -v[234:235]
	v_fma_f64 v[236:237], v[44:45], s[26:27], v[234:235]
	s_delay_alu instid0(VALU_DEP_2) | instskip(SKIP_1) | instid1(VALU_DEP_3)
	v_add_f64_e32 v[208:209], v[232:233], v[208:209]
	v_mul_f64_e32 v[232:233], s[16:17], v[32:33]
	v_add_f64_e32 v[210:211], v[236:237], v[210:211]
	s_delay_alu instid0(VALU_DEP_2) | instskip(SKIP_1) | instid1(VALU_DEP_2)
	v_fma_f64 v[234:235], v[42:43], s[14:15], -v[232:233]
	v_fma_f64 v[232:233], v[42:43], s[14:15], v[232:233]
	v_add_f64_e32 v[214:215], v[234:235], v[214:215]
	v_mul_f64_e32 v[234:235], s[16:17], v[36:37]
	s_delay_alu instid0(VALU_DEP_3) | instskip(NEXT) | instid1(VALU_DEP_2)
	v_add_f64_e32 v[212:213], v[232:233], v[212:213]
	v_fma_f64 v[232:233], v[44:45], s[14:15], -v[234:235]
	v_fma_f64 v[236:237], v[44:45], s[14:15], v[234:235]
	s_delay_alu instid0(VALU_DEP_2) | instskip(SKIP_1) | instid1(VALU_DEP_3)
	v_add_f64_e32 v[216:217], v[232:233], v[216:217]
	v_mul_f64_e32 v[232:233], s[36:37], v[32:33]
	v_add_f64_e32 v[218:219], v[236:237], v[218:219]
	s_delay_alu instid0(VALU_DEP_2) | instskip(SKIP_1) | instid1(VALU_DEP_2)
	v_fma_f64 v[234:235], v[42:43], s[38:39], -v[232:233]
	v_fma_f64 v[232:233], v[42:43], s[38:39], v[232:233]
	v_add_f64_e32 v[70:71], v[234:235], v[70:71]
	v_mul_f64_e32 v[234:235], s[36:37], v[36:37]
	s_delay_alu instid0(VALU_DEP_3) | instskip(NEXT) | instid1(VALU_DEP_2)
	v_add_f64_e32 v[68:69], v[232:233], v[68:69]
	v_fma_f64 v[232:233], v[44:45], s[38:39], -v[234:235]
	v_fma_f64 v[236:237], v[44:45], s[38:39], v[234:235]
	s_delay_alu instid0(VALU_DEP_2) | instskip(SKIP_2) | instid1(VALU_DEP_4)
	v_add_f64_e32 v[72:73], v[232:233], v[72:73]
	v_mul_f64_e32 v[232:233], s[54:55], v[32:33]
	v_mul_f64_e32 v[32:33], s[48:49], v[32:33]
	v_add_f64_e32 v[74:75], v[236:237], v[74:75]
	s_delay_alu instid0(VALU_DEP_3) | instskip(SKIP_1) | instid1(VALU_DEP_2)
	v_fma_f64 v[234:235], v[42:43], s[24:25], -v[232:233]
	v_fma_f64 v[232:233], v[42:43], s[24:25], v[232:233]
	v_add_f64_e32 v[78:79], v[234:235], v[78:79]
	v_mul_f64_e32 v[234:235], s[54:55], v[36:37]
	s_delay_alu instid0(VALU_DEP_3) | instskip(SKIP_1) | instid1(VALU_DEP_3)
	v_add_f64_e32 v[76:77], v[232:233], v[76:77]
	v_mul_f64_e32 v[36:37], s[48:49], v[36:37]
	v_fma_f64 v[232:233], v[44:45], s[24:25], -v[234:235]
	v_fma_f64 v[236:237], v[44:45], s[24:25], v[234:235]
	s_delay_alu instid0(VALU_DEP_2) | instskip(SKIP_2) | instid1(VALU_DEP_4)
	v_add_f64_e32 v[80:81], v[232:233], v[80:81]
	v_fma_f64 v[232:233], v[42:43], s[18:19], -v[32:33]
	v_fma_f64 v[32:33], v[42:43], s[18:19], v[32:33]
	v_add_f64_e32 v[82:83], v[236:237], v[82:83]
	s_delay_alu instid0(VALU_DEP_3) | instskip(NEXT) | instid1(VALU_DEP_3)
	v_add_f64_e32 v[220:221], v[232:233], v[220:221]
	v_add_f64_e32 v[32:33], v[32:33], v[34:35]
	v_fma_f64 v[34:35], v[44:45], s[18:19], -v[36:37]
	v_fma_f64 v[232:233], v[44:45], s[18:19], v[36:37]
	v_add_f64_e32 v[36:37], v[30:31], v[228:229]
	v_add_f64_e64 v[30:31], v[30:31], -v[228:229]
	s_delay_alu instid0(VALU_DEP_4) | instskip(SKIP_2) | instid1(VALU_DEP_4)
	v_add_f64_e32 v[34:35], v[34:35], v[40:41]
	v_add_f64_e32 v[40:41], v[26:27], v[28:29]
	v_add_f64_e64 v[26:27], v[26:27], -v[28:29]
	v_mul_f64_e32 v[44:45], s[10:11], v[30:31]
	v_add_f64_e32 v[222:223], v[232:233], v[222:223]
	s_delay_alu instid0(VALU_DEP_3) | instskip(NEXT) | instid1(VALU_DEP_1)
	v_mul_f64_e32 v[28:29], s[10:11], v[26:27]
	v_fma_f64 v[42:43], v[36:37], s[12:13], -v[28:29]
	v_fma_f64 v[28:29], v[36:37], s[12:13], v[28:29]
	s_delay_alu instid0(VALU_DEP_2) | instskip(SKIP_1) | instid1(VALU_DEP_3)
	v_add_f64_e32 v[42:43], v[42:43], v[48:49]
	v_fma_f64 v[48:49], v[40:41], s[12:13], v[44:45]
	v_add_f64_e32 v[28:29], v[28:29], v[38:39]
	v_fma_f64 v[38:39], v[40:41], s[12:13], -v[44:45]
	v_mul_f64_e32 v[44:45], s[42:43], v[26:27]
	s_delay_alu instid0(VALU_DEP_4) | instskip(NEXT) | instid1(VALU_DEP_3)
	v_add_f64_e32 v[48:49], v[48:49], v[224:225]
	v_add_f64_e32 v[38:39], v[38:39], v[46:47]
	s_delay_alu instid0(VALU_DEP_3) | instskip(SKIP_1) | instid1(VALU_DEP_2)
	v_fma_f64 v[46:47], v[36:37], s[38:39], -v[44:45]
	v_fma_f64 v[44:45], v[36:37], s[38:39], v[44:45]
	v_add_f64_e32 v[46:47], v[46:47], v[57:58]
	v_mul_f64_e32 v[57:58], s[42:43], v[30:31]
	s_delay_alu instid0(VALU_DEP_3) | instskip(NEXT) | instid1(VALU_DEP_2)
	v_add_f64_e32 v[44:45], v[44:45], v[50:51]
	v_fma_f64 v[224:225], v[40:41], s[38:39], v[57:58]
	v_fma_f64 v[50:51], v[40:41], s[38:39], -v[57:58]
	v_mul_f64_e32 v[57:58], s[48:49], v[26:27]
	s_delay_alu instid0(VALU_DEP_3) | instskip(NEXT) | instid1(VALU_DEP_3)
	v_add_f64_e32 v[224:225], v[224:225], v[230:231]
	v_add_f64_e32 v[50:51], v[50:51], v[59:60]
	s_delay_alu instid0(VALU_DEP_3) | instskip(SKIP_1) | instid1(VALU_DEP_2)
	v_fma_f64 v[59:60], v[36:37], s[18:19], -v[57:58]
	v_fma_f64 v[57:58], v[36:37], s[18:19], v[57:58]
	v_add_f64_e32 v[52:53], v[59:60], v[52:53]
	v_mul_f64_e32 v[59:60], s[48:49], v[30:31]
	s_delay_alu instid0(VALU_DEP_3) | instskip(NEXT) | instid1(VALU_DEP_2)
	v_add_f64_e32 v[57:58], v[57:58], v[226:227]
	v_fma_f64 v[228:229], v[40:41], s[18:19], v[59:60]
	v_fma_f64 v[59:60], v[40:41], s[18:19], -v[59:60]
	s_delay_alu instid0(VALU_DEP_2) | instskip(NEXT) | instid1(VALU_DEP_2)
	v_add_f64_e32 v[66:67], v[228:229], v[66:67]
	v_add_f64_e32 v[59:60], v[59:60], v[63:64]
	v_mul_f64_e32 v[63:64], s[16:17], v[26:27]
	s_delay_alu instid0(VALU_DEP_1) | instskip(SKIP_1) | instid1(VALU_DEP_2)
	v_fma_f64 v[226:227], v[36:37], s[14:15], -v[63:64]
	v_fma_f64 v[63:64], v[36:37], s[14:15], v[63:64]
	v_add_f64_e32 v[206:207], v[226:227], v[206:207]
	v_mul_f64_e32 v[226:227], s[16:17], v[30:31]
	s_delay_alu instid0(VALU_DEP_3) | instskip(NEXT) | instid1(VALU_DEP_2)
	v_add_f64_e32 v[63:64], v[63:64], v[204:205]
	v_fma_f64 v[204:205], v[40:41], s[14:15], -v[226:227]
	v_fma_f64 v[228:229], v[40:41], s[14:15], v[226:227]
	s_delay_alu instid0(VALU_DEP_2) | instskip(SKIP_1) | instid1(VALU_DEP_3)
	v_add_f64_e32 v[204:205], v[204:205], v[208:209]
	v_mul_f64_e32 v[208:209], s[40:41], v[26:27]
	v_add_f64_e32 v[210:211], v[228:229], v[210:211]
	s_delay_alu instid0(VALU_DEP_2) | instskip(SKIP_1) | instid1(VALU_DEP_2)
	v_fma_f64 v[226:227], v[36:37], s[44:45], -v[208:209]
	v_fma_f64 v[208:209], v[36:37], s[44:45], v[208:209]
	v_add_f64_e32 v[214:215], v[226:227], v[214:215]
	v_mul_f64_e32 v[226:227], s[40:41], v[30:31]
	s_delay_alu instid0(VALU_DEP_3) | instskip(NEXT) | instid1(VALU_DEP_2)
	v_add_f64_e32 v[208:209], v[208:209], v[212:213]
	v_fma_f64 v[212:213], v[40:41], s[44:45], -v[226:227]
	v_fma_f64 v[228:229], v[40:41], s[44:45], v[226:227]
	s_delay_alu instid0(VALU_DEP_2) | instskip(SKIP_1) | instid1(VALU_DEP_3)
	v_add_f64_e32 v[212:213], v[212:213], v[216:217]
	v_mul_f64_e32 v[216:217], s[50:51], v[26:27]
	v_add_f64_e32 v[218:219], v[228:229], v[218:219]
	s_delay_alu instid0(VALU_DEP_2) | instskip(SKIP_1) | instid1(VALU_DEP_2)
	v_fma_f64 v[226:227], v[36:37], s[2:3], -v[216:217]
	v_fma_f64 v[216:217], v[36:37], s[2:3], v[216:217]
	v_add_f64_e32 v[70:71], v[226:227], v[70:71]
	v_mul_f64_e32 v[226:227], s[50:51], v[30:31]
	s_delay_alu instid0(VALU_DEP_3) | instskip(NEXT) | instid1(VALU_DEP_2)
	v_add_f64_e32 v[68:69], v[216:217], v[68:69]
	v_fma_f64 v[216:217], v[40:41], s[2:3], -v[226:227]
	v_fma_f64 v[228:229], v[40:41], s[2:3], v[226:227]
	s_delay_alu instid0(VALU_DEP_2) | instskip(SKIP_2) | instid1(VALU_DEP_4)
	v_add_f64_e32 v[72:73], v[216:217], v[72:73]
	v_mul_f64_e32 v[216:217], s[28:29], v[26:27]
	v_mul_f64_e32 v[26:27], s[22:23], v[26:27]
	v_add_f64_e32 v[74:75], v[228:229], v[74:75]
	s_delay_alu instid0(VALU_DEP_3) | instskip(SKIP_1) | instid1(VALU_DEP_2)
	v_fma_f64 v[226:227], v[36:37], s[26:27], -v[216:217]
	v_fma_f64 v[216:217], v[36:37], s[26:27], v[216:217]
	v_add_f64_e32 v[78:79], v[226:227], v[78:79]
	v_mul_f64_e32 v[226:227], s[28:29], v[30:31]
	s_delay_alu instid0(VALU_DEP_3) | instskip(SKIP_1) | instid1(VALU_DEP_3)
	v_add_f64_e32 v[76:77], v[216:217], v[76:77]
	v_mul_f64_e32 v[30:31], s[22:23], v[30:31]
	v_fma_f64 v[216:217], v[40:41], s[26:27], -v[226:227]
	v_fma_f64 v[228:229], v[40:41], s[26:27], v[226:227]
	s_delay_alu instid0(VALU_DEP_2) | instskip(SKIP_2) | instid1(VALU_DEP_4)
	v_add_f64_e32 v[80:81], v[216:217], v[80:81]
	v_fma_f64 v[216:217], v[36:37], s[24:25], -v[26:27]
	v_fma_f64 v[26:27], v[36:37], s[24:25], v[26:27]
	v_add_f64_e32 v[82:83], v[228:229], v[82:83]
	s_delay_alu instid0(VALU_DEP_3)
	v_add_f64_e32 v[216:217], v[216:217], v[220:221]
	v_fma_f64 v[220:221], v[40:41], s[24:25], v[30:31]
	v_fma_f64 v[30:31], v[40:41], s[24:25], -v[30:31]
	v_add_f64_e32 v[26:27], v[26:27], v[32:33]
	v_add_f64_e32 v[32:33], v[22:23], v[24:25]
	v_add_f64_e64 v[22:23], v[22:23], -v[24:25]
	v_add_f64_e32 v[220:221], v[220:221], v[222:223]
	v_add_f64_e32 v[30:31], v[30:31], v[34:35]
	;; [unrolled: 1-line block ×3, first 2 shown]
	v_add_f64_e64 v[18:19], v[18:19], -v[20:21]
	v_mul_f64_e32 v[36:37], s[22:23], v[22:23]
	v_add_f64_e32 v[222:223], v[10:11], v[12:13]
	v_add_f64_e64 v[10:11], v[10:11], -v[12:13]
	s_delay_alu instid0(VALU_DEP_4) | instskip(NEXT) | instid1(VALU_DEP_4)
	v_mul_f64_e32 v[20:21], s[22:23], v[18:19]
	v_fma_f64 v[40:41], v[34:35], s[24:25], v[36:37]
	s_delay_alu instid0(VALU_DEP_3) | instskip(NEXT) | instid1(VALU_DEP_3)
	v_mul_f64_e32 v[12:13], s[36:37], v[10:11]
	v_fma_f64 v[24:25], v[32:33], s[24:25], -v[20:21]
	v_fma_f64 v[20:21], v[32:33], s[24:25], v[20:21]
	s_delay_alu instid0(VALU_DEP_4) | instskip(NEXT) | instid1(VALU_DEP_3)
	v_add_f64_e32 v[40:41], v[40:41], v[48:49]
	v_add_f64_e32 v[24:25], v[24:25], v[42:43]
	s_delay_alu instid0(VALU_DEP_3) | instskip(SKIP_3) | instid1(VALU_DEP_3)
	v_add_f64_e32 v[20:21], v[20:21], v[28:29]
	v_fma_f64 v[28:29], v[34:35], s[24:25], -v[36:37]
	v_mul_f64_e32 v[36:37], s[30:31], v[18:19]
	v_mul_f64_e32 v[42:43], s[30:31], v[22:23]
	v_add_f64_e32 v[28:29], v[28:29], v[38:39]
	s_delay_alu instid0(VALU_DEP_3) | instskip(SKIP_1) | instid1(VALU_DEP_2)
	v_fma_f64 v[38:39], v[32:33], s[12:13], -v[36:37]
	v_fma_f64 v[36:37], v[32:33], s[12:13], v[36:37]
	v_add_f64_e32 v[38:39], v[38:39], v[46:47]
	v_fma_f64 v[46:47], v[34:35], s[12:13], v[42:43]
	s_delay_alu instid0(VALU_DEP_3) | instskip(SKIP_2) | instid1(VALU_DEP_4)
	v_add_f64_e32 v[36:37], v[36:37], v[44:45]
	v_fma_f64 v[42:43], v[34:35], s[12:13], -v[42:43]
	v_mul_f64_e32 v[44:45], s[28:29], v[18:19]
	v_add_f64_e32 v[46:47], v[46:47], v[224:225]
	s_delay_alu instid0(VALU_DEP_3) | instskip(NEXT) | instid1(VALU_DEP_3)
	v_add_f64_e32 v[42:43], v[42:43], v[50:51]
	v_fma_f64 v[48:49], v[32:33], s[26:27], -v[44:45]
	v_mul_f64_e32 v[50:51], s[28:29], v[22:23]
	v_fma_f64 v[44:45], v[32:33], s[26:27], v[44:45]
	s_delay_alu instid0(VALU_DEP_3) | instskip(NEXT) | instid1(VALU_DEP_3)
	v_add_f64_e32 v[48:49], v[48:49], v[52:53]
	v_fma_f64 v[52:53], v[34:35], s[26:27], v[50:51]
	s_delay_alu instid0(VALU_DEP_3) | instskip(SKIP_2) | instid1(VALU_DEP_4)
	v_add_f64_e32 v[44:45], v[44:45], v[57:58]
	v_fma_f64 v[50:51], v[34:35], s[26:27], -v[50:51]
	v_mul_f64_e32 v[57:58], s[36:37], v[18:19]
	v_add_f64_e32 v[52:53], v[52:53], v[66:67]
	v_mul_f64_e32 v[66:67], s[36:37], v[22:23]
	s_delay_alu instid0(VALU_DEP_4) | instskip(NEXT) | instid1(VALU_DEP_4)
	v_add_f64_e32 v[50:51], v[50:51], v[59:60]
	v_fma_f64 v[59:60], v[32:33], s[38:39], -v[57:58]
	v_fma_f64 v[57:58], v[32:33], s[38:39], v[57:58]
	s_delay_alu instid0(VALU_DEP_2) | instskip(SKIP_1) | instid1(VALU_DEP_3)
	v_add_f64_e32 v[59:60], v[59:60], v[206:207]
	v_fma_f64 v[206:207], v[34:35], s[38:39], v[66:67]
	v_add_f64_e32 v[57:58], v[57:58], v[63:64]
	v_fma_f64 v[63:64], v[34:35], s[38:39], -v[66:67]
	v_mul_f64_e32 v[66:67], s[50:51], v[18:19]
	s_delay_alu instid0(VALU_DEP_4) | instskip(SKIP_1) | instid1(VALU_DEP_4)
	v_add_f64_e32 v[206:207], v[206:207], v[210:211]
	v_mul_f64_e32 v[210:211], s[50:51], v[22:23]
	v_add_f64_e32 v[63:64], v[63:64], v[204:205]
	s_delay_alu instid0(VALU_DEP_4) | instskip(SKIP_1) | instid1(VALU_DEP_2)
	v_fma_f64 v[204:205], v[32:33], s[2:3], -v[66:67]
	v_fma_f64 v[66:67], v[32:33], s[2:3], v[66:67]
	v_add_f64_e32 v[204:205], v[204:205], v[214:215]
	v_fma_f64 v[214:215], v[34:35], s[2:3], v[210:211]
	s_delay_alu instid0(VALU_DEP_3) | instskip(SKIP_2) | instid1(VALU_DEP_4)
	v_add_f64_e32 v[66:67], v[66:67], v[208:209]
	v_fma_f64 v[208:209], v[34:35], s[2:3], -v[210:211]
	v_mul_f64_e32 v[210:211], s[20:21], v[18:19]
	v_add_f64_e32 v[214:215], v[214:215], v[218:219]
	s_delay_alu instid0(VALU_DEP_3) | instskip(NEXT) | instid1(VALU_DEP_3)
	v_add_f64_e32 v[208:209], v[208:209], v[212:213]
	v_fma_f64 v[212:213], v[32:33], s[18:19], -v[210:211]
	v_fma_f64 v[210:211], v[32:33], s[18:19], v[210:211]
	s_delay_alu instid0(VALU_DEP_2) | instskip(SKIP_1) | instid1(VALU_DEP_3)
	v_add_f64_e32 v[70:71], v[212:213], v[70:71]
	v_mul_f64_e32 v[212:213], s[20:21], v[22:23]
	v_add_f64_e32 v[68:69], v[210:211], v[68:69]
	s_delay_alu instid0(VALU_DEP_2) | instskip(SKIP_1) | instid1(VALU_DEP_2)
	v_fma_f64 v[210:211], v[34:35], s[18:19], -v[212:213]
	v_fma_f64 v[218:219], v[34:35], s[18:19], v[212:213]
	v_add_f64_e32 v[72:73], v[210:211], v[72:73]
	v_mul_f64_e32 v[210:211], s[40:41], v[18:19]
	s_delay_alu instid0(VALU_DEP_3) | instskip(SKIP_1) | instid1(VALU_DEP_3)
	v_add_f64_e32 v[74:75], v[218:219], v[74:75]
	v_mul_f64_e32 v[18:19], s[34:35], v[18:19]
	v_fma_f64 v[212:213], v[32:33], s[44:45], -v[210:211]
	v_fma_f64 v[210:211], v[32:33], s[44:45], v[210:211]
	s_delay_alu instid0(VALU_DEP_2) | instskip(SKIP_2) | instid1(VALU_DEP_4)
	v_add_f64_e32 v[78:79], v[212:213], v[78:79]
	v_mul_f64_e32 v[212:213], s[40:41], v[22:23]
	v_mul_f64_e32 v[22:23], s[34:35], v[22:23]
	v_add_f64_e32 v[76:77], v[210:211], v[76:77]
	s_delay_alu instid0(VALU_DEP_3) | instskip(SKIP_1) | instid1(VALU_DEP_4)
	v_fma_f64 v[218:219], v[34:35], s[44:45], v[212:213]
	v_fma_f64 v[210:211], v[34:35], s[44:45], -v[212:213]
	v_fma_f64 v[212:213], v[34:35], s[14:15], v[22:23]
	s_delay_alu instid0(VALU_DEP_3) | instskip(NEXT) | instid1(VALU_DEP_3)
	v_add_f64_e32 v[82:83], v[218:219], v[82:83]
	v_add_f64_e32 v[80:81], v[210:211], v[80:81]
	s_delay_alu instid0(VALU_DEP_3) | instskip(SKIP_4) | instid1(VALU_DEP_4)
	v_add_f64_e32 v[212:213], v[212:213], v[220:221]
	v_add_f64_e32 v[220:221], v[14:15], v[16:17]
	v_add_f64_e64 v[14:15], v[14:15], -v[16:17]
	v_fma_f64 v[210:211], v[32:33], s[14:15], -v[18:19]
	v_fma_f64 v[18:19], v[32:33], s[14:15], v[18:19]
	v_fma_f64 v[16:17], v[220:221], s[38:39], -v[12:13]
	v_fma_f64 v[12:13], v[220:221], s[38:39], v[12:13]
	s_delay_alu instid0(VALU_DEP_4) | instskip(NEXT) | instid1(VALU_DEP_4)
	v_add_f64_e32 v[210:211], v[210:211], v[216:217]
	v_add_f64_e32 v[216:217], v[18:19], v[26:27]
	v_fma_f64 v[18:19], v[34:35], s[14:15], -v[22:23]
	v_add_f64_e32 v[224:225], v[16:17], v[24:25]
	v_mul_f64_e32 v[16:17], s[36:37], v[14:15]
	v_add_f64_e32 v[252:253], v[12:13], v[20:21]
	v_add_f64_e64 v[20:21], v[4:5], -v[6:7]
	v_add_f64_e32 v[218:219], v[18:19], v[30:31]
	s_delay_alu instid0(VALU_DEP_4) | instskip(SKIP_1) | instid1(VALU_DEP_2)
	v_fma_f64 v[12:13], v[222:223], s[38:39], -v[16:17]
	v_fma_f64 v[18:19], v[222:223], s[38:39], v[16:17]
	v_add_f64_e32 v[84:85], v[12:13], v[28:29]
	v_mul_f64_e32 v[12:13], s[34:35], v[10:11]
	s_delay_alu instid0(VALU_DEP_3) | instskip(SKIP_1) | instid1(VALU_DEP_3)
	v_add_f64_e32 v[226:227], v[18:19], v[40:41]
	v_add_f64_e64 v[40:41], v[0:1], -v[2:3]
	v_fma_f64 v[16:17], v[220:221], s[14:15], -v[12:13]
	v_fma_f64 v[12:13], v[220:221], s[14:15], v[12:13]
	s_delay_alu instid0(VALU_DEP_2) | instskip(SKIP_1) | instid1(VALU_DEP_3)
	v_add_f64_e32 v[236:237], v[16:17], v[38:39]
	v_mul_f64_e32 v[16:17], s[34:35], v[14:15]
	v_add_f64_e32 v[232:233], v[12:13], v[36:37]
	s_delay_alu instid0(VALU_DEP_2) | instskip(SKIP_1) | instid1(VALU_DEP_2)
	v_fma_f64 v[12:13], v[222:223], s[14:15], -v[16:17]
	v_fma_f64 v[18:19], v[222:223], s[14:15], v[16:17]
	v_add_f64_e32 v[234:235], v[12:13], v[42:43]
	v_mul_f64_e32 v[12:13], s[8:9], v[10:11]
	s_delay_alu instid0(VALU_DEP_3) | instskip(NEXT) | instid1(VALU_DEP_2)
	v_add_f64_e32 v[238:239], v[18:19], v[46:47]
	v_fma_f64 v[16:17], v[220:221], s[2:3], -v[12:13]
	v_fma_f64 v[12:13], v[220:221], s[2:3], v[12:13]
	s_delay_alu instid0(VALU_DEP_2) | instskip(SKIP_1) | instid1(VALU_DEP_3)
	v_add_f64_e32 v[244:245], v[16:17], v[48:49]
	v_mul_f64_e32 v[16:17], s[8:9], v[14:15]
	v_add_f64_e32 v[240:241], v[12:13], v[44:45]
	s_delay_alu instid0(VALU_DEP_2) | instskip(SKIP_1) | instid1(VALU_DEP_2)
	v_fma_f64 v[12:13], v[222:223], s[2:3], -v[16:17]
	v_fma_f64 v[18:19], v[222:223], s[2:3], v[16:17]
	v_add_f64_e32 v[242:243], v[12:13], v[50:51]
	v_mul_f64_e32 v[12:13], s[54:55], v[10:11]
	s_delay_alu instid0(VALU_DEP_3) | instskip(NEXT) | instid1(VALU_DEP_2)
	v_add_f64_e32 v[246:247], v[18:19], v[52:53]
	;; [unrolled: 13-line block ×4, first 2 shown]
	v_fma_f64 v[16:17], v[220:221], s[44:45], -v[12:13]
	v_fma_f64 v[12:13], v[220:221], s[44:45], v[12:13]
	s_delay_alu instid0(VALU_DEP_2) | instskip(SKIP_1) | instid1(VALU_DEP_3)
	v_add_f64_e32 v[36:37], v[16:17], v[70:71]
	v_mul_f64_e32 v[16:17], s[40:41], v[14:15]
	v_add_f64_e32 v[34:35], v[12:13], v[68:69]
	s_delay_alu instid0(VALU_DEP_2) | instskip(SKIP_1) | instid1(VALU_DEP_2)
	v_fma_f64 v[12:13], v[222:223], s[44:45], -v[16:17]
	v_fma_f64 v[18:19], v[222:223], s[44:45], v[16:17]
	v_add_f64_e32 v[32:33], v[12:13], v[72:73]
	v_mul_f64_e32 v[12:13], s[48:49], v[10:11]
	v_mul_f64_e32 v[10:11], s[10:11], v[10:11]
	s_delay_alu instid0(VALU_DEP_4) | instskip(NEXT) | instid1(VALU_DEP_3)
	v_add_f64_e32 v[38:39], v[18:19], v[74:75]
	v_fma_f64 v[16:17], v[220:221], s[18:19], -v[12:13]
	v_fma_f64 v[12:13], v[220:221], s[18:19], v[12:13]
	s_delay_alu instid0(VALU_DEP_2) | instskip(SKIP_1) | instid1(VALU_DEP_3)
	v_add_f64_e32 v[28:29], v[16:17], v[78:79]
	v_mul_f64_e32 v[16:17], s[48:49], v[14:15]
	v_add_f64_e32 v[26:27], v[12:13], v[76:77]
	s_delay_alu instid0(VALU_DEP_2) | instskip(SKIP_2) | instid1(VALU_DEP_3)
	v_fma_f64 v[12:13], v[222:223], s[18:19], -v[16:17]
	v_fma_f64 v[18:19], v[222:223], s[18:19], v[16:17]
	v_add_f64_e32 v[16:17], v[4:5], v[6:7]
	v_add_f64_e32 v[24:25], v[12:13], v[80:81]
	v_fma_f64 v[12:13], v[220:221], s[12:13], -v[10:11]
	v_fma_f64 v[10:11], v[220:221], s[12:13], v[10:11]
	v_add_f64_e32 v[30:31], v[18:19], v[82:83]
	s_delay_alu instid0(VALU_DEP_3) | instskip(SKIP_1) | instid1(VALU_DEP_1)
	v_add_f64_e32 v[22:23], v[12:13], v[210:211]
	v_mul_f64_e32 v[12:13], s[10:11], v[14:15]
	v_fma_f64 v[14:15], v[222:223], s[12:13], v[12:13]
	s_delay_alu instid0(VALU_DEP_1) | instskip(SKIP_4) | instid1(VALU_DEP_3)
	v_add_f64_e32 v[18:19], v[14:15], v[212:213]
	v_add_f64_e32 v[14:15], v[10:11], v[216:217]
	v_fma_f64 v[10:11], v[222:223], s[12:13], -v[12:13]
	v_add_f64_e32 v[12:13], v[0:1], v[2:3]
	v_mul_f64_e32 v[0:1], s[40:41], v[40:41]
	v_add_f64_e32 v[10:11], v[10:11], v[218:219]
	s_delay_alu instid0(VALU_DEP_2) | instskip(SKIP_1) | instid1(VALU_DEP_2)
	v_fma_f64 v[2:3], v[16:17], s[44:45], -v[0:1]
	v_fma_f64 v[0:1], v[16:17], s[44:45], v[0:1]
	v_add_f64_e32 v[228:229], v[2:3], v[224:225]
	v_mul_f64_e32 v[2:3], s[40:41], v[20:21]
	s_delay_alu instid0(VALU_DEP_3) | instskip(NEXT) | instid1(VALU_DEP_2)
	v_add_f64_e32 v[224:225], v[0:1], v[252:253]
	v_fma_f64 v[4:5], v[12:13], s[44:45], v[2:3]
	v_fma_f64 v[0:1], v[12:13], s[44:45], -v[2:3]
	s_delay_alu instid0(VALU_DEP_2) | instskip(NEXT) | instid1(VALU_DEP_2)
	v_add_f64_e32 v[230:231], v[4:5], v[226:227]
	v_add_f64_e32 v[226:227], v[0:1], v[84:85]
	v_mul_f64_e32 v[0:1], s[46:47], v[40:41]
	s_delay_alu instid0(VALU_DEP_1) | instskip(SKIP_1) | instid1(VALU_DEP_2)
	v_fma_f64 v[2:3], v[16:17], s[26:27], -v[0:1]
	v_fma_f64 v[0:1], v[16:17], s[26:27], v[0:1]
	v_add_f64_e32 v[236:237], v[2:3], v[236:237]
	v_mul_f64_e32 v[2:3], s[46:47], v[20:21]
	s_delay_alu instid0(VALU_DEP_3) | instskip(NEXT) | instid1(VALU_DEP_2)
	v_add_f64_e32 v[232:233], v[0:1], v[232:233]
	v_fma_f64 v[0:1], v[12:13], s[26:27], -v[2:3]
	v_fma_f64 v[4:5], v[12:13], s[26:27], v[2:3]
	s_delay_alu instid0(VALU_DEP_2) | instskip(SKIP_1) | instid1(VALU_DEP_3)
	v_add_f64_e32 v[234:235], v[0:1], v[234:235]
	v_mul_f64_e32 v[0:1], s[36:37], v[40:41]
	v_add_f64_e32 v[238:239], v[4:5], v[238:239]
	s_delay_alu instid0(VALU_DEP_2) | instskip(SKIP_1) | instid1(VALU_DEP_2)
	v_fma_f64 v[2:3], v[16:17], s[38:39], -v[0:1]
	v_fma_f64 v[0:1], v[16:17], s[38:39], v[0:1]
	v_add_f64_e32 v[244:245], v[2:3], v[244:245]
	v_mul_f64_e32 v[2:3], s[36:37], v[20:21]
	s_delay_alu instid0(VALU_DEP_3) | instskip(NEXT) | instid1(VALU_DEP_2)
	v_add_f64_e32 v[240:241], v[0:1], v[240:241]
	v_fma_f64 v[0:1], v[12:13], s[38:39], -v[2:3]
	v_fma_f64 v[4:5], v[12:13], s[38:39], v[2:3]
	s_delay_alu instid0(VALU_DEP_2) | instskip(SKIP_1) | instid1(VALU_DEP_3)
	v_add_f64_e32 v[242:243], v[0:1], v[242:243]
	v_mul_f64_e32 v[0:1], s[48:49], v[40:41]
	v_add_f64_e32 v[246:247], v[4:5], v[246:247]
	s_delay_alu instid0(VALU_DEP_2) | instskip(SKIP_1) | instid1(VALU_DEP_2)
	;; [unrolled: 13-line block ×3, first 2 shown]
	v_fma_f64 v[2:3], v[16:17], s[24:25], -v[0:1]
	v_fma_f64 v[0:1], v[16:17], s[24:25], v[0:1]
	v_add_f64_e32 v[4:5], v[2:3], v[46:47]
	v_mul_f64_e32 v[2:3], s[22:23], v[20:21]
	s_delay_alu instid0(VALU_DEP_3) | instskip(NEXT) | instid1(VALU_DEP_2)
	v_add_f64_e32 v[0:1], v[0:1], v[44:45]
	v_fma_f64 v[6:7], v[12:13], s[24:25], v[2:3]
	v_fma_f64 v[2:3], v[12:13], s[24:25], -v[2:3]
	s_delay_alu instid0(VALU_DEP_2) | instskip(NEXT) | instid1(VALU_DEP_2)
	v_add_f64_e32 v[6:7], v[6:7], v[48:49]
	v_add_f64_e32 v[2:3], v[2:3], v[42:43]
	v_mul_f64_e32 v[42:43], s[34:35], v[40:41]
	s_delay_alu instid0(VALU_DEP_1) | instskip(SKIP_1) | instid1(VALU_DEP_2)
	v_fma_f64 v[44:45], v[16:17], s[14:15], -v[42:43]
	v_fma_f64 v[42:43], v[16:17], s[14:15], v[42:43]
	v_add_f64_e32 v[36:37], v[44:45], v[36:37]
	v_mul_f64_e32 v[44:45], s[34:35], v[20:21]
	s_delay_alu instid0(VALU_DEP_3) | instskip(NEXT) | instid1(VALU_DEP_2)
	v_add_f64_e32 v[42:43], v[42:43], v[34:35]
	v_fma_f64 v[34:35], v[12:13], s[14:15], -v[44:45]
	v_fma_f64 v[46:47], v[12:13], s[14:15], v[44:45]
	s_delay_alu instid0(VALU_DEP_2) | instskip(SKIP_1) | instid1(VALU_DEP_3)
	v_add_f64_e32 v[44:45], v[34:35], v[32:33]
	v_mul_f64_e32 v[32:33], s[10:11], v[40:41]
	v_add_f64_e32 v[38:39], v[46:47], v[38:39]
	s_delay_alu instid0(VALU_DEP_2) | instskip(SKIP_1) | instid1(VALU_DEP_2)
	v_fma_f64 v[34:35], v[16:17], s[12:13], -v[32:33]
	v_fma_f64 v[32:33], v[16:17], s[12:13], v[32:33]
	v_add_f64_e32 v[28:29], v[34:35], v[28:29]
	v_mul_f64_e32 v[34:35], s[10:11], v[20:21]
	s_delay_alu instid0(VALU_DEP_3) | instskip(SKIP_1) | instid1(VALU_DEP_3)
	v_add_f64_e32 v[32:33], v[32:33], v[26:27]
	v_mul_f64_e32 v[20:21], s[50:51], v[20:21]
	v_fma_f64 v[26:27], v[12:13], s[12:13], -v[34:35]
	v_fma_f64 v[46:47], v[12:13], s[12:13], v[34:35]
	s_delay_alu instid0(VALU_DEP_2) | instskip(SKIP_1) | instid1(VALU_DEP_3)
	v_add_f64_e32 v[34:35], v[26:27], v[24:25]
	v_mul_f64_e32 v[26:27], s[50:51], v[40:41]
	v_add_f64_e32 v[30:31], v[46:47], v[30:31]
	s_delay_alu instid0(VALU_DEP_2) | instskip(SKIP_1) | instid1(VALU_DEP_2)
	v_fma_f64 v[24:25], v[16:17], s[2:3], -v[26:27]
	v_fma_f64 v[16:17], v[16:17], s[2:3], v[26:27]
	v_add_f64_e32 v[22:23], v[24:25], v[22:23]
	v_fma_f64 v[24:25], v[12:13], s[2:3], v[20:21]
	v_fma_f64 v[12:13], v[12:13], s[2:3], -v[20:21]
	s_delay_alu instid0(VALU_DEP_4) | instskip(NEXT) | instid1(VALU_DEP_3)
	v_add_f64_e32 v[14:15], v[16:17], v[14:15]
	v_add_f64_e32 v[24:25], v[24:25], v[18:19]
	s_delay_alu instid0(VALU_DEP_3)
	v_add_f64_e32 v[16:17], v[12:13], v[10:11]
	scratch_load_b128 v[10:13], off, off offset:360 th:TH_LOAD_LU ; 16-byte Folded Reload
	s_wait_loadcnt 0x0
	ds_store_b128 v62, v[10:13]
	ds_store_b128 v62, v[228:231] offset:1904
	ds_store_b128 v62, v[236:239] offset:3808
	;; [unrolled: 1-line block ×16, first 2 shown]
	global_wb scope:SCOPE_SE
	s_wait_storecnt_dscnt 0x0
	s_barrier_signal -1
	s_barrier_wait -1
	global_inv scope:SCOPE_SE
	global_load_b128 v[4:7], v[8:9], off offset:32368
	ds_load_b128 v[0:3], v62
	s_wait_loadcnt_dscnt 0x0
	v_mul_f64_e32 v[8:9], v[2:3], v[6:7]
	s_delay_alu instid0(VALU_DEP_1) | instskip(SKIP_1) | instid1(VALU_DEP_1)
	v_fma_f64 v[8:9], v[0:1], v[4:5], -v[8:9]
	v_mul_f64_e32 v[0:1], v[0:1], v[6:7]
	v_fma_f64 v[10:11], v[2:3], v[4:5], v[0:1]
	ds_load_b128 v[0:3], v62 offset:1904
	global_load_b128 v[4:7], v62, s[56:57] offset:1904
	ds_store_b128 v62, v[8:11]
	s_wait_loadcnt_dscnt 0x1
	v_mul_f64_e32 v[8:9], v[2:3], v[6:7]
	s_delay_alu instid0(VALU_DEP_1) | instskip(SKIP_1) | instid1(VALU_DEP_1)
	v_fma_f64 v[8:9], v[0:1], v[4:5], -v[8:9]
	v_mul_f64_e32 v[0:1], v[0:1], v[6:7]
	v_fma_f64 v[10:11], v[2:3], v[4:5], v[0:1]
	ds_load_b128 v[0:3], v62 offset:3808
	global_load_b128 v[4:7], v62, s[56:57] offset:3808
	ds_store_b128 v62, v[8:11] offset:1904
	s_wait_loadcnt_dscnt 0x1
	v_mul_f64_e32 v[8:9], v[2:3], v[6:7]
	s_delay_alu instid0(VALU_DEP_1) | instskip(SKIP_1) | instid1(VALU_DEP_1)
	v_fma_f64 v[8:9], v[0:1], v[4:5], -v[8:9]
	v_mul_f64_e32 v[0:1], v[0:1], v[6:7]
	v_fma_f64 v[10:11], v[2:3], v[4:5], v[0:1]
	ds_load_b128 v[0:3], v62 offset:5712
	global_load_b128 v[4:7], v62, s[56:57] offset:5712
	ds_store_b128 v62, v[8:11] offset:3808
	;; [unrolled: 9-line block ×15, first 2 shown]
	s_wait_loadcnt_dscnt 0x1
	v_mul_f64_e32 v[8:9], v[2:3], v[6:7]
	s_delay_alu instid0(VALU_DEP_1) | instskip(SKIP_1) | instid1(VALU_DEP_1)
	v_fma_f64 v[8:9], v[0:1], v[4:5], -v[8:9]
	v_mul_f64_e32 v[0:1], v[0:1], v[6:7]
	v_fma_f64 v[10:11], v[2:3], v[4:5], v[0:1]
	ds_store_b128 v62, v[8:11] offset:30464
	global_wb scope:SCOPE_SE
	s_wait_dscnt 0x0
	s_barrier_signal -1
	s_barrier_wait -1
	global_inv scope:SCOPE_SE
	ds_load_b128 v[0:3], v62
	ds_load_b128 v[4:7], v62 offset:1904
	ds_load_b128 v[8:11], v62 offset:3808
	;; [unrolled: 1-line block ×16, first 2 shown]
	global_wb scope:SCOPE_SE
	s_wait_dscnt 0x0
	s_barrier_signal -1
	s_barrier_wait -1
	global_inv scope:SCOPE_SE
	v_add_f64_e32 v[38:39], v[2:3], v[6:7]
	v_add_f64_e32 v[36:37], v[0:1], v[4:5]
	s_delay_alu instid0(VALU_DEP_2) | instskip(NEXT) | instid1(VALU_DEP_2)
	v_add_f64_e32 v[38:39], v[38:39], v[10:11]
	v_add_f64_e32 v[36:37], v[36:37], v[8:9]
	s_delay_alu instid0(VALU_DEP_2) | instskip(NEXT) | instid1(VALU_DEP_2)
	;; [unrolled: 3-line block ×14, first 2 shown]
	v_add_f64_e32 v[38:39], v[38:39], v[30:31]
	v_add_f64_e32 v[36:37], v[36:37], v[28:29]
	s_delay_alu instid0(VALU_DEP_2) | instskip(SKIP_2) | instid1(VALU_DEP_4)
	v_add_f64_e32 v[222:223], v[38:39], v[34:35]
	v_add_f64_e32 v[38:39], v[6:7], v[34:35]
	v_add_f64_e64 v[6:7], v[6:7], -v[34:35]
	v_add_f64_e32 v[220:221], v[36:37], v[32:33]
	v_add_f64_e32 v[36:37], v[4:5], v[32:33]
	v_add_f64_e64 v[4:5], v[4:5], -v[32:33]
	v_mul_f64_e32 v[40:41], s[26:27], v[38:39]
	v_mul_f64_e32 v[32:33], s[28:29], v[6:7]
	;; [unrolled: 1-line block ×16, first 2 shown]
	v_fma_f64 v[42:43], v[4:5], s[46:47], v[40:41]
	v_fma_f64 v[34:35], v[36:37], s[26:27], v[32:33]
	v_fma_f64 v[32:33], v[36:37], s[26:27], -v[32:33]
	v_fma_f64 v[46:47], v[36:37], s[18:19], v[44:45]
	v_fma_f64 v[44:45], v[36:37], s[18:19], -v[44:45]
	;; [unrolled: 2-line block ×8, first 2 shown]
	v_fma_f64 v[40:41], v[4:5], s[28:29], v[40:41]
	v_fma_f64 v[50:51], v[4:5], s[48:49], v[48:49]
	;; [unrolled: 1-line block ×15, first 2 shown]
	v_add_f64_e32 v[42:43], v[2:3], v[42:43]
	v_add_f64_e32 v[34:35], v[0:1], v[34:35]
	;; [unrolled: 1-line block ×18, first 2 shown]
	v_add_f64_e64 v[10:11], v[10:11], -v[30:31]
	v_add_f64_e32 v[40:41], v[2:3], v[40:41]
	v_add_f64_e32 v[50:51], v[2:3], v[50:51]
	;; [unrolled: 1-line block ×16, first 2 shown]
	v_add_f64_e64 v[8:9], v[8:9], -v[28:29]
	v_mul_f64_e32 v[28:29], s[20:21], v[10:11]
	s_delay_alu instid0(VALU_DEP_1) | instskip(SKIP_1) | instid1(VALU_DEP_2)
	v_fma_f64 v[30:31], v[4:5], s[18:19], v[28:29]
	v_fma_f64 v[28:29], v[4:5], s[18:19], -v[28:29]
	v_add_f64_e32 v[30:31], v[30:31], v[34:35]
	v_mul_f64_e32 v[34:35], s[18:19], v[6:7]
	s_delay_alu instid0(VALU_DEP_3) | instskip(NEXT) | instid1(VALU_DEP_2)
	v_add_f64_e32 v[28:29], v[28:29], v[32:33]
	v_fma_f64 v[36:37], v[8:9], s[48:49], v[34:35]
	v_fma_f64 v[32:33], v[8:9], s[20:21], v[34:35]
	v_mul_f64_e32 v[34:35], s[8:9], v[10:11]
	s_delay_alu instid0(VALU_DEP_3) | instskip(NEXT) | instid1(VALU_DEP_3)
	v_add_f64_e32 v[36:37], v[36:37], v[42:43]
	v_add_f64_e32 v[32:33], v[32:33], v[40:41]
	s_delay_alu instid0(VALU_DEP_3) | instskip(SKIP_2) | instid1(VALU_DEP_3)
	v_fma_f64 v[38:39], v[4:5], s[2:3], v[34:35]
	v_fma_f64 v[34:35], v[4:5], s[2:3], -v[34:35]
	v_mul_f64_e32 v[40:41], s[2:3], v[6:7]
	v_add_f64_e32 v[38:39], v[38:39], v[46:47]
	s_delay_alu instid0(VALU_DEP_3) | instskip(SKIP_1) | instid1(VALU_DEP_4)
	v_add_f64_e32 v[34:35], v[34:35], v[44:45]
	v_mul_f64_e32 v[44:45], s[22:23], v[10:11]
	v_fma_f64 v[42:43], v[8:9], s[50:51], v[40:41]
	v_fma_f64 v[40:41], v[8:9], s[8:9], v[40:41]
	s_delay_alu instid0(VALU_DEP_3) | instskip(SKIP_1) | instid1(VALU_DEP_3)
	v_fma_f64 v[46:47], v[4:5], s[24:25], v[44:45]
	v_fma_f64 v[44:45], v[4:5], s[24:25], -v[44:45]
	v_add_f64_e32 v[40:41], v[40:41], v[48:49]
	v_mul_f64_e32 v[48:49], s[24:25], v[6:7]
	v_add_f64_e32 v[42:43], v[42:43], v[50:51]
	v_add_f64_e32 v[46:47], v[46:47], v[57:58]
	v_add_f64_e32 v[44:45], v[44:45], v[52:53]
	v_mul_f64_e32 v[52:53], s[40:41], v[10:11]
	v_fma_f64 v[50:51], v[8:9], s[54:55], v[48:49]
	v_fma_f64 v[48:49], v[8:9], s[22:23], v[48:49]
	s_delay_alu instid0(VALU_DEP_3) | instskip(SKIP_1) | instid1(VALU_DEP_3)
	v_fma_f64 v[57:58], v[4:5], s[44:45], v[52:53]
	v_fma_f64 v[52:53], v[4:5], s[44:45], -v[52:53]
	v_add_f64_e32 v[48:49], v[48:49], v[59:60]
	v_mul_f64_e32 v[59:60], s[44:45], v[6:7]
	v_add_f64_e32 v[50:51], v[50:51], v[63:64]
	v_add_f64_e32 v[57:58], v[57:58], v[68:69]
	;; [unrolled: 11-line block ×4, first 2 shown]
	v_add_f64_e32 v[74:75], v[74:75], v[82:83]
	v_mul_f64_e32 v[82:83], s[34:35], v[10:11]
	v_fma_f64 v[80:81], v[8:9], s[10:11], v[78:79]
	v_fma_f64 v[78:79], v[8:9], s[30:31], v[78:79]
	v_mul_f64_e32 v[10:11], s[46:47], v[10:11]
	s_delay_alu instid0(VALU_DEP_4) | instskip(SKIP_1) | instid1(VALU_DEP_4)
	v_fma_f64 v[84:85], v[4:5], s[14:15], v[82:83]
	v_fma_f64 v[82:83], v[4:5], s[14:15], -v[82:83]
	v_add_f64_e32 v[78:79], v[78:79], v[86:87]
	v_mul_f64_e32 v[86:87], s[14:15], v[6:7]
	v_mul_f64_e32 v[6:7], s[26:27], v[6:7]
	v_add_f64_e32 v[80:81], v[80:81], v[204:205]
	v_add_f64_e32 v[84:85], v[84:85], v[208:209]
	;; [unrolled: 1-line block ×3, first 2 shown]
	v_fma_f64 v[206:207], v[4:5], s[26:27], v[10:11]
	v_fma_f64 v[4:5], v[4:5], s[26:27], -v[10:11]
	v_add_f64_e64 v[10:11], v[14:15], -v[26:27]
	v_fma_f64 v[204:205], v[8:9], s[16:17], v[86:87]
	v_fma_f64 v[86:87], v[8:9], s[34:35], v[86:87]
	;; [unrolled: 1-line block ×3, first 2 shown]
	v_add_f64_e32 v[206:207], v[206:207], v[214:215]
	v_add_f64_e32 v[0:1], v[4:5], v[0:1]
	v_fma_f64 v[4:5], v[8:9], s[46:47], v[6:7]
	v_add_f64_e64 v[8:9], v[12:13], -v[24:25]
	v_add_f64_e32 v[6:7], v[14:15], v[26:27]
	v_add_f64_e32 v[86:87], v[86:87], v[210:211]
	;; [unrolled: 1-line block ×6, first 2 shown]
	v_mul_f64_e32 v[12:13], s[16:17], v[10:11]
	v_mul_f64_e32 v[24:25], s[14:15], v[6:7]
	s_delay_alu instid0(VALU_DEP_2) | instskip(SKIP_1) | instid1(VALU_DEP_3)
	v_fma_f64 v[14:15], v[4:5], s[14:15], v[12:13]
	v_fma_f64 v[12:13], v[4:5], s[14:15], -v[12:13]
	v_fma_f64 v[26:27], v[8:9], s[34:35], v[24:25]
	v_fma_f64 v[24:25], v[8:9], s[16:17], v[24:25]
	s_delay_alu instid0(VALU_DEP_4) | instskip(NEXT) | instid1(VALU_DEP_4)
	v_add_f64_e32 v[14:15], v[14:15], v[30:31]
	v_add_f64_e32 v[12:13], v[12:13], v[28:29]
	v_mul_f64_e32 v[28:29], s[22:23], v[10:11]
	s_delay_alu instid0(VALU_DEP_4) | instskip(SKIP_2) | instid1(VALU_DEP_4)
	v_add_f64_e32 v[24:25], v[24:25], v[32:33]
	v_mul_f64_e32 v[32:33], s[24:25], v[6:7]
	v_add_f64_e32 v[26:27], v[26:27], v[36:37]
	v_fma_f64 v[30:31], v[4:5], s[24:25], v[28:29]
	v_fma_f64 v[28:29], v[4:5], s[24:25], -v[28:29]
	s_delay_alu instid0(VALU_DEP_4) | instskip(SKIP_1) | instid1(VALU_DEP_4)
	v_fma_f64 v[36:37], v[8:9], s[54:55], v[32:33]
	v_fma_f64 v[32:33], v[8:9], s[22:23], v[32:33]
	v_add_f64_e32 v[30:31], v[30:31], v[38:39]
	s_delay_alu instid0(VALU_DEP_4) | instskip(SKIP_1) | instid1(VALU_DEP_4)
	v_add_f64_e32 v[28:29], v[28:29], v[34:35]
	v_mul_f64_e32 v[34:35], s[52:53], v[10:11]
	v_add_f64_e32 v[32:33], v[32:33], v[40:41]
	v_mul_f64_e32 v[40:41], s[44:45], v[6:7]
	v_add_f64_e32 v[36:37], v[36:37], v[42:43]
	s_delay_alu instid0(VALU_DEP_4) | instskip(SKIP_1) | instid1(VALU_DEP_4)
	v_fma_f64 v[38:39], v[4:5], s[44:45], v[34:35]
	v_fma_f64 v[34:35], v[4:5], s[44:45], -v[34:35]
	v_fma_f64 v[42:43], v[8:9], s[40:41], v[40:41]
	v_fma_f64 v[40:41], v[8:9], s[52:53], v[40:41]
	s_delay_alu instid0(VALU_DEP_4) | instskip(NEXT) | instid1(VALU_DEP_4)
	v_add_f64_e32 v[38:39], v[38:39], v[46:47]
	v_add_f64_e32 v[34:35], v[34:35], v[44:45]
	v_mul_f64_e32 v[44:45], s[30:31], v[10:11]
	s_delay_alu instid0(VALU_DEP_4) | instskip(SKIP_2) | instid1(VALU_DEP_4)
	v_add_f64_e32 v[40:41], v[40:41], v[48:49]
	v_mul_f64_e32 v[48:49], s[12:13], v[6:7]
	v_add_f64_e32 v[42:43], v[42:43], v[50:51]
	v_fma_f64 v[46:47], v[4:5], s[12:13], v[44:45]
	v_fma_f64 v[44:45], v[4:5], s[12:13], -v[44:45]
	s_delay_alu instid0(VALU_DEP_4) | instskip(SKIP_1) | instid1(VALU_DEP_4)
	v_fma_f64 v[50:51], v[8:9], s[10:11], v[48:49]
	v_fma_f64 v[48:49], v[8:9], s[30:31], v[48:49]
	v_add_f64_e32 v[46:47], v[46:47], v[57:58]
	s_delay_alu instid0(VALU_DEP_4) | instskip(SKIP_1) | instid1(VALU_DEP_4)
	v_add_f64_e32 v[44:45], v[44:45], v[52:53]
	v_mul_f64_e32 v[52:53], s[48:49], v[10:11]
	v_add_f64_e32 v[48:49], v[48:49], v[59:60]
	v_mul_f64_e32 v[59:60], s[18:19], v[6:7]
	v_add_f64_e32 v[50:51], v[50:51], v[63:64]
	s_delay_alu instid0(VALU_DEP_4) | instskip(SKIP_1) | instid1(VALU_DEP_4)
	v_fma_f64 v[57:58], v[4:5], s[18:19], v[52:53]
	v_fma_f64 v[52:53], v[4:5], s[18:19], -v[52:53]
	v_fma_f64 v[63:64], v[8:9], s[20:21], v[59:60]
	v_fma_f64 v[59:60], v[8:9], s[48:49], v[59:60]
	s_delay_alu instid0(VALU_DEP_4) | instskip(NEXT) | instid1(VALU_DEP_4)
	v_add_f64_e32 v[57:58], v[57:58], v[68:69]
	v_add_f64_e32 v[52:53], v[52:53], v[66:67]
	v_mul_f64_e32 v[66:67], s[28:29], v[10:11]
	s_delay_alu instid0(VALU_DEP_4) | instskip(SKIP_2) | instid1(VALU_DEP_4)
	v_add_f64_e32 v[59:60], v[59:60], v[70:71]
	v_mul_f64_e32 v[70:71], s[26:27], v[6:7]
	v_add_f64_e32 v[63:64], v[63:64], v[72:73]
	v_fma_f64 v[68:69], v[4:5], s[26:27], v[66:67]
	v_fma_f64 v[66:67], v[4:5], s[26:27], -v[66:67]
	s_delay_alu instid0(VALU_DEP_4) | instskip(SKIP_1) | instid1(VALU_DEP_4)
	v_fma_f64 v[72:73], v[8:9], s[46:47], v[70:71]
	v_fma_f64 v[70:71], v[8:9], s[28:29], v[70:71]
	v_add_f64_e32 v[68:69], v[68:69], v[76:77]
	s_delay_alu instid0(VALU_DEP_4)
	v_add_f64_e32 v[66:67], v[66:67], v[74:75]
	v_mul_f64_e32 v[74:75], s[8:9], v[10:11]
	v_mul_f64_e32 v[10:11], s[36:37], v[10:11]
	v_add_f64_e32 v[70:71], v[70:71], v[78:79]
	v_mul_f64_e32 v[78:79], s[2:3], v[6:7]
	v_mul_f64_e32 v[6:7], s[38:39], v[6:7]
	v_add_f64_e32 v[72:73], v[72:73], v[80:81]
	v_fma_f64 v[76:77], v[4:5], s[2:3], v[74:75]
	v_fma_f64 v[74:75], v[4:5], s[2:3], -v[74:75]
	v_fma_f64 v[80:81], v[8:9], s[50:51], v[78:79]
	v_fma_f64 v[78:79], v[8:9], s[8:9], v[78:79]
	s_delay_alu instid0(VALU_DEP_4) | instskip(NEXT) | instid1(VALU_DEP_4)
	v_add_f64_e32 v[76:77], v[76:77], v[84:85]
	v_add_f64_e32 v[74:75], v[74:75], v[82:83]
	v_fma_f64 v[82:83], v[4:5], s[38:39], v[10:11]
	v_fma_f64 v[4:5], v[4:5], s[38:39], -v[10:11]
	v_add_f64_e64 v[10:11], v[18:19], -v[22:23]
	v_fma_f64 v[84:85], v[8:9], s[42:43], v[6:7]
	v_add_f64_e32 v[78:79], v[78:79], v[86:87]
	v_add_f64_e32 v[80:81], v[80:81], v[204:205]
	v_add_f64_e64 v[86:87], v[234:235], -v[238:239]
	v_add_f64_e32 v[82:83], v[82:83], v[206:207]
	v_add_f64_e32 v[0:1], v[4:5], v[0:1]
	v_fma_f64 v[4:5], v[8:9], s[36:37], v[6:7]
	v_add_f64_e64 v[8:9], v[16:17], -v[20:21]
	v_add_f64_e32 v[6:7], v[18:19], v[22:23]
	v_add_f64_e32 v[84:85], v[84:85], v[208:209]
	s_delay_alu instid0(VALU_DEP_4) | instskip(SKIP_2) | instid1(VALU_DEP_1)
	v_add_f64_e32 v[2:3], v[4:5], v[2:3]
	v_add_f64_e32 v[4:5], v[16:17], v[20:21]
	v_mul_f64_e32 v[16:17], s[8:9], v[10:11]
	v_fma_f64 v[18:19], v[4:5], s[2:3], v[16:17]
	v_fma_f64 v[16:17], v[4:5], s[2:3], -v[16:17]
	s_delay_alu instid0(VALU_DEP_2) | instskip(SKIP_1) | instid1(VALU_DEP_3)
	v_add_f64_e32 v[14:15], v[18:19], v[14:15]
	v_mul_f64_e32 v[18:19], s[2:3], v[6:7]
	v_add_f64_e32 v[12:13], v[16:17], v[12:13]
	s_delay_alu instid0(VALU_DEP_2) | instskip(SKIP_2) | instid1(VALU_DEP_3)
	v_fma_f64 v[20:21], v[8:9], s[50:51], v[18:19]
	v_fma_f64 v[16:17], v[8:9], s[8:9], v[18:19]
	v_mul_f64_e32 v[18:19], s[40:41], v[10:11]
	v_add_f64_e32 v[20:21], v[20:21], v[26:27]
	s_delay_alu instid0(VALU_DEP_3) | instskip(NEXT) | instid1(VALU_DEP_3)
	v_add_f64_e32 v[16:17], v[16:17], v[24:25]
	v_fma_f64 v[22:23], v[4:5], s[44:45], v[18:19]
	v_fma_f64 v[18:19], v[4:5], s[44:45], -v[18:19]
	v_mul_f64_e32 v[24:25], s[44:45], v[6:7]
	s_delay_alu instid0(VALU_DEP_3) | instskip(NEXT) | instid1(VALU_DEP_3)
	v_add_f64_e32 v[22:23], v[22:23], v[30:31]
	v_add_f64_e32 v[18:19], v[18:19], v[28:29]
	v_mul_f64_e32 v[28:29], s[30:31], v[10:11]
	s_delay_alu instid0(VALU_DEP_4) | instskip(SKIP_1) | instid1(VALU_DEP_3)
	v_fma_f64 v[26:27], v[8:9], s[52:53], v[24:25]
	v_fma_f64 v[24:25], v[8:9], s[40:41], v[24:25]
	;; [unrolled: 1-line block ×3, first 2 shown]
	v_fma_f64 v[28:29], v[4:5], s[12:13], -v[28:29]
	s_delay_alu instid0(VALU_DEP_3)
	v_add_f64_e32 v[24:25], v[24:25], v[32:33]
	v_mul_f64_e32 v[32:33], s[12:13], v[6:7]
	v_add_f64_e32 v[26:27], v[26:27], v[36:37]
	v_add_f64_e32 v[30:31], v[30:31], v[38:39]
	v_add_f64_e32 v[28:29], v[28:29], v[34:35]
	v_mul_f64_e32 v[34:35], s[46:47], v[10:11]
	v_fma_f64 v[36:37], v[8:9], s[10:11], v[32:33]
	v_fma_f64 v[32:33], v[8:9], s[30:31], v[32:33]
	s_delay_alu instid0(VALU_DEP_3) | instskip(SKIP_1) | instid1(VALU_DEP_3)
	v_fma_f64 v[38:39], v[4:5], s[26:27], v[34:35]
	v_fma_f64 v[34:35], v[4:5], s[26:27], -v[34:35]
	v_add_f64_e32 v[32:33], v[32:33], v[40:41]
	v_mul_f64_e32 v[40:41], s[26:27], v[6:7]
	v_add_f64_e32 v[36:37], v[36:37], v[42:43]
	v_add_f64_e32 v[38:39], v[38:39], v[46:47]
	v_add_f64_e32 v[34:35], v[34:35], v[44:45]
	v_mul_f64_e32 v[44:45], s[16:17], v[10:11]
	v_fma_f64 v[42:43], v[8:9], s[28:29], v[40:41]
	v_fma_f64 v[40:41], v[8:9], s[46:47], v[40:41]
	s_delay_alu instid0(VALU_DEP_3) | instskip(SKIP_1) | instid1(VALU_DEP_3)
	v_fma_f64 v[46:47], v[4:5], s[14:15], v[44:45]
	v_fma_f64 v[44:45], v[4:5], s[14:15], -v[44:45]
	;; [unrolled: 11-line block ×3, first 2 shown]
	v_add_f64_e32 v[48:49], v[48:49], v[59:60]
	v_mul_f64_e32 v[59:60], s[38:39], v[6:7]
	v_add_f64_e32 v[50:51], v[50:51], v[63:64]
	v_add_f64_e32 v[57:58], v[57:58], v[68:69]
	v_add_f64_e32 v[52:53], v[52:53], v[66:67]
	v_mul_f64_e32 v[66:67], s[54:55], v[10:11]
	v_fma_f64 v[63:64], v[8:9], s[42:43], v[59:60]
	v_fma_f64 v[59:60], v[8:9], s[36:37], v[59:60]
	v_mul_f64_e32 v[10:11], s[48:49], v[10:11]
	s_delay_alu instid0(VALU_DEP_4) | instskip(SKIP_1) | instid1(VALU_DEP_4)
	v_fma_f64 v[68:69], v[4:5], s[24:25], v[66:67]
	v_fma_f64 v[66:67], v[4:5], s[24:25], -v[66:67]
	v_add_f64_e32 v[59:60], v[59:60], v[70:71]
	v_mul_f64_e32 v[70:71], s[24:25], v[6:7]
	v_mul_f64_e32 v[6:7], s[18:19], v[6:7]
	v_add_f64_e32 v[63:64], v[63:64], v[72:73]
	v_add_f64_e32 v[68:69], v[68:69], v[76:77]
	;; [unrolled: 1-line block ×3, first 2 shown]
	v_fma_f64 v[74:75], v[4:5], s[18:19], v[10:11]
	v_fma_f64 v[4:5], v[4:5], s[18:19], -v[10:11]
	v_fma_f64 v[72:73], v[8:9], s[22:23], v[70:71]
	v_fma_f64 v[70:71], v[8:9], s[54:55], v[70:71]
	v_add_f64_e64 v[10:11], v[250:251], -v[254:255]
	v_fma_f64 v[76:77], v[8:9], s[20:21], v[6:7]
	v_add_f64_e32 v[74:75], v[74:75], v[82:83]
	v_add_f64_e32 v[0:1], v[4:5], v[0:1]
	v_fma_f64 v[4:5], v[8:9], s[48:49], v[6:7]
	v_add_f64_e32 v[70:71], v[70:71], v[78:79]
	v_mul_f64_e32 v[78:79], s[10:11], v[10:11]
	v_add_f64_e32 v[72:73], v[72:73], v[80:81]
	v_add_f64_e32 v[6:7], v[250:251], v[254:255]
	v_add_f64_e64 v[8:9], v[248:249], -v[252:253]
	v_add_f64_e32 v[76:77], v[76:77], v[84:85]
	v_add_f64_e64 v[84:85], v[232:233], -v[236:237]
	v_add_f64_e32 v[2:3], v[4:5], v[2:3]
	v_add_f64_e32 v[4:5], v[248:249], v[252:253]
	s_delay_alu instid0(VALU_DEP_1) | instskip(SKIP_1) | instid1(VALU_DEP_2)
	v_fma_f64 v[80:81], v[4:5], s[12:13], v[78:79]
	v_fma_f64 v[78:79], v[4:5], s[12:13], -v[78:79]
	v_add_f64_e32 v[14:15], v[80:81], v[14:15]
	v_mul_f64_e32 v[80:81], s[12:13], v[6:7]
	s_delay_alu instid0(VALU_DEP_3) | instskip(NEXT) | instid1(VALU_DEP_2)
	v_add_f64_e32 v[12:13], v[78:79], v[12:13]
	v_fma_f64 v[78:79], v[8:9], s[10:11], v[80:81]
	v_fma_f64 v[82:83], v[8:9], s[30:31], v[80:81]
	s_delay_alu instid0(VALU_DEP_2) | instskip(SKIP_1) | instid1(VALU_DEP_3)
	v_add_f64_e32 v[16:17], v[78:79], v[16:17]
	v_mul_f64_e32 v[78:79], s[42:43], v[10:11]
	v_add_f64_e32 v[20:21], v[82:83], v[20:21]
	s_delay_alu instid0(VALU_DEP_2) | instskip(SKIP_1) | instid1(VALU_DEP_2)
	v_fma_f64 v[80:81], v[4:5], s[38:39], v[78:79]
	v_fma_f64 v[78:79], v[4:5], s[38:39], -v[78:79]
	v_add_f64_e32 v[22:23], v[80:81], v[22:23]
	v_mul_f64_e32 v[80:81], s[38:39], v[6:7]
	s_delay_alu instid0(VALU_DEP_3) | instskip(NEXT) | instid1(VALU_DEP_2)
	v_add_f64_e32 v[18:19], v[78:79], v[18:19]
	v_fma_f64 v[78:79], v[8:9], s[42:43], v[80:81]
	v_fma_f64 v[82:83], v[8:9], s[36:37], v[80:81]
	s_delay_alu instid0(VALU_DEP_2) | instskip(SKIP_1) | instid1(VALU_DEP_3)
	v_add_f64_e32 v[24:25], v[78:79], v[24:25]
	v_mul_f64_e32 v[78:79], s[48:49], v[10:11]
	v_add_f64_e32 v[26:27], v[82:83], v[26:27]
	s_delay_alu instid0(VALU_DEP_2) | instskip(SKIP_1) | instid1(VALU_DEP_2)
	;; [unrolled: 13-line block ×5, first 2 shown]
	v_fma_f64 v[80:81], v[4:5], s[2:3], v[78:79]
	v_fma_f64 v[78:79], v[4:5], s[2:3], -v[78:79]
	v_add_f64_e32 v[57:58], v[80:81], v[57:58]
	v_mul_f64_e32 v[80:81], s[2:3], v[6:7]
	s_delay_alu instid0(VALU_DEP_3) | instskip(NEXT) | instid1(VALU_DEP_2)
	v_add_f64_e32 v[52:53], v[78:79], v[52:53]
	v_fma_f64 v[78:79], v[8:9], s[50:51], v[80:81]
	v_fma_f64 v[82:83], v[8:9], s[8:9], v[80:81]
	s_delay_alu instid0(VALU_DEP_2) | instskip(SKIP_2) | instid1(VALU_DEP_4)
	v_add_f64_e32 v[59:60], v[78:79], v[59:60]
	v_mul_f64_e32 v[78:79], s[28:29], v[10:11]
	v_mul_f64_e32 v[10:11], s[22:23], v[10:11]
	v_add_f64_e32 v[63:64], v[82:83], v[63:64]
	s_delay_alu instid0(VALU_DEP_3) | instskip(SKIP_1) | instid1(VALU_DEP_2)
	v_fma_f64 v[80:81], v[4:5], s[26:27], v[78:79]
	v_fma_f64 v[78:79], v[4:5], s[26:27], -v[78:79]
	v_add_f64_e32 v[68:69], v[80:81], v[68:69]
	v_mul_f64_e32 v[80:81], s[26:27], v[6:7]
	s_delay_alu instid0(VALU_DEP_3) | instskip(SKIP_1) | instid1(VALU_DEP_3)
	v_add_f64_e32 v[66:67], v[78:79], v[66:67]
	v_mul_f64_e32 v[6:7], s[24:25], v[6:7]
	v_fma_f64 v[78:79], v[8:9], s[28:29], v[80:81]
	v_fma_f64 v[82:83], v[8:9], s[46:47], v[80:81]
	s_delay_alu instid0(VALU_DEP_2) | instskip(SKIP_4) | instid1(VALU_DEP_4)
	v_add_f64_e32 v[70:71], v[78:79], v[70:71]
	v_fma_f64 v[78:79], v[4:5], s[24:25], v[10:11]
	v_fma_f64 v[4:5], v[4:5], s[24:25], -v[10:11]
	v_add_f64_e64 v[10:11], v[242:243], -v[246:247]
	v_add_f64_e32 v[72:73], v[82:83], v[72:73]
	v_add_f64_e32 v[74:75], v[78:79], v[74:75]
	v_fma_f64 v[78:79], v[8:9], s[54:55], v[6:7]
	v_add_f64_e32 v[0:1], v[4:5], v[0:1]
	v_fma_f64 v[4:5], v[8:9], s[22:23], v[6:7]
	v_add_f64_e32 v[6:7], v[242:243], v[246:247]
	v_add_f64_e64 v[8:9], v[240:241], -v[244:245]
	v_add_f64_e32 v[76:77], v[78:79], v[76:77]
	v_mul_f64_e32 v[78:79], s[22:23], v[10:11]
	v_add_f64_e32 v[2:3], v[4:5], v[2:3]
	v_add_f64_e32 v[4:5], v[240:241], v[244:245]
	s_delay_alu instid0(VALU_DEP_1) | instskip(SKIP_1) | instid1(VALU_DEP_2)
	v_fma_f64 v[80:81], v[4:5], s[24:25], v[78:79]
	v_fma_f64 v[78:79], v[4:5], s[24:25], -v[78:79]
	v_add_f64_e32 v[14:15], v[80:81], v[14:15]
	v_mul_f64_e32 v[80:81], s[24:25], v[6:7]
	s_delay_alu instid0(VALU_DEP_3) | instskip(NEXT) | instid1(VALU_DEP_2)
	v_add_f64_e32 v[12:13], v[78:79], v[12:13]
	v_fma_f64 v[78:79], v[8:9], s[22:23], v[80:81]
	v_fma_f64 v[82:83], v[8:9], s[54:55], v[80:81]
	s_delay_alu instid0(VALU_DEP_2) | instskip(SKIP_1) | instid1(VALU_DEP_3)
	v_add_f64_e32 v[16:17], v[78:79], v[16:17]
	v_mul_f64_e32 v[78:79], s[30:31], v[10:11]
	v_add_f64_e32 v[20:21], v[82:83], v[20:21]
	s_delay_alu instid0(VALU_DEP_2) | instskip(SKIP_1) | instid1(VALU_DEP_2)
	v_fma_f64 v[80:81], v[4:5], s[12:13], v[78:79]
	v_fma_f64 v[78:79], v[4:5], s[12:13], -v[78:79]
	v_add_f64_e32 v[22:23], v[80:81], v[22:23]
	v_mul_f64_e32 v[80:81], s[12:13], v[6:7]
	s_delay_alu instid0(VALU_DEP_3) | instskip(NEXT) | instid1(VALU_DEP_2)
	v_add_f64_e32 v[18:19], v[78:79], v[18:19]
	v_fma_f64 v[78:79], v[8:9], s[30:31], v[80:81]
	v_fma_f64 v[82:83], v[8:9], s[10:11], v[80:81]
	s_delay_alu instid0(VALU_DEP_2) | instskip(SKIP_1) | instid1(VALU_DEP_3)
	v_add_f64_e32 v[24:25], v[78:79], v[24:25]
	v_mul_f64_e32 v[78:79], s[28:29], v[10:11]
	v_add_f64_e32 v[26:27], v[82:83], v[26:27]
	s_delay_alu instid0(VALU_DEP_2) | instskip(SKIP_1) | instid1(VALU_DEP_2)
	;; [unrolled: 13-line block ×5, first 2 shown]
	v_fma_f64 v[80:81], v[4:5], s[18:19], v[78:79]
	v_fma_f64 v[78:79], v[4:5], s[18:19], -v[78:79]
	v_add_f64_e32 v[57:58], v[80:81], v[57:58]
	v_mul_f64_e32 v[80:81], s[18:19], v[6:7]
	s_delay_alu instid0(VALU_DEP_3) | instskip(NEXT) | instid1(VALU_DEP_2)
	v_add_f64_e32 v[52:53], v[78:79], v[52:53]
	v_fma_f64 v[78:79], v[8:9], s[20:21], v[80:81]
	v_fma_f64 v[82:83], v[8:9], s[48:49], v[80:81]
	s_delay_alu instid0(VALU_DEP_2) | instskip(SKIP_2) | instid1(VALU_DEP_4)
	v_add_f64_e32 v[59:60], v[78:79], v[59:60]
	v_mul_f64_e32 v[78:79], s[40:41], v[10:11]
	v_mul_f64_e32 v[10:11], s[34:35], v[10:11]
	v_add_f64_e32 v[63:64], v[82:83], v[63:64]
	s_delay_alu instid0(VALU_DEP_3) | instskip(SKIP_1) | instid1(VALU_DEP_2)
	v_fma_f64 v[80:81], v[4:5], s[44:45], v[78:79]
	v_fma_f64 v[78:79], v[4:5], s[44:45], -v[78:79]
	v_add_f64_e32 v[68:69], v[80:81], v[68:69]
	v_mul_f64_e32 v[80:81], s[44:45], v[6:7]
	s_delay_alu instid0(VALU_DEP_3) | instskip(SKIP_1) | instid1(VALU_DEP_3)
	v_add_f64_e32 v[66:67], v[78:79], v[66:67]
	v_mul_f64_e32 v[6:7], s[14:15], v[6:7]
	v_fma_f64 v[78:79], v[8:9], s[40:41], v[80:81]
	v_fma_f64 v[82:83], v[8:9], s[52:53], v[80:81]
	v_add_f64_e32 v[80:81], v[232:233], v[236:237]
	s_delay_alu instid0(VALU_DEP_3) | instskip(SKIP_4) | instid1(VALU_DEP_4)
	v_add_f64_e32 v[70:71], v[78:79], v[70:71]
	v_fma_f64 v[78:79], v[4:5], s[14:15], v[10:11]
	v_fma_f64 v[4:5], v[4:5], s[14:15], -v[10:11]
	v_add_f64_e32 v[72:73], v[82:83], v[72:73]
	v_add_f64_e32 v[82:83], v[234:235], v[238:239]
	;; [unrolled: 1-line block ×3, first 2 shown]
	v_fma_f64 v[78:79], v[8:9], s[16:17], v[6:7]
	s_delay_alu instid0(VALU_DEP_1) | instskip(SKIP_2) | instid1(VALU_DEP_1)
	v_add_f64_e32 v[76:77], v[78:79], v[76:77]
	v_add_f64_e32 v[78:79], v[4:5], v[0:1]
	v_fma_f64 v[0:1], v[8:9], s[34:35], v[6:7]
	v_add_f64_e32 v[8:9], v[0:1], v[2:3]
	v_mul_f64_e32 v[0:1], s[36:37], v[86:87]
	s_delay_alu instid0(VALU_DEP_1) | instskip(SKIP_1) | instid1(VALU_DEP_2)
	v_fma_f64 v[2:3], v[80:81], s[38:39], v[0:1]
	v_fma_f64 v[0:1], v[80:81], s[38:39], -v[0:1]
	v_add_f64_e32 v[236:237], v[2:3], v[14:15]
	v_mul_f64_e32 v[2:3], s[38:39], v[82:83]
	s_delay_alu instid0(VALU_DEP_3) | instskip(NEXT) | instid1(VALU_DEP_2)
	v_add_f64_e32 v[0:1], v[0:1], v[12:13]
	v_fma_f64 v[4:5], v[84:85], s[42:43], v[2:3]
	v_fma_f64 v[2:3], v[84:85], s[36:37], v[2:3]
	s_delay_alu instid0(VALU_DEP_2) | instskip(SKIP_1) | instid1(VALU_DEP_3)
	v_add_f64_e32 v[238:239], v[4:5], v[20:21]
	v_mul_f64_e32 v[4:5], s[34:35], v[86:87]
	v_add_f64_e32 v[2:3], v[2:3], v[16:17]
	v_mul_f64_e32 v[16:17], s[26:27], v[82:83]
	s_delay_alu instid0(VALU_DEP_3) | instskip(SKIP_1) | instid1(VALU_DEP_2)
	v_fma_f64 v[6:7], v[80:81], s[14:15], v[4:5]
	v_fma_f64 v[4:5], v[80:81], s[14:15], -v[4:5]
	v_add_f64_e32 v[240:241], v[6:7], v[22:23]
	v_mul_f64_e32 v[6:7], s[14:15], v[82:83]
	s_delay_alu instid0(VALU_DEP_3) | instskip(SKIP_1) | instid1(VALU_DEP_3)
	v_add_f64_e32 v[232:233], v[4:5], v[18:19]
	v_mul_f64_e32 v[18:19], s[40:41], v[86:87]
	v_fma_f64 v[4:5], v[84:85], s[34:35], v[6:7]
	v_fma_f64 v[10:11], v[84:85], s[16:17], v[6:7]
	s_delay_alu instid0(VALU_DEP_3) | instskip(SKIP_1) | instid1(VALU_DEP_4)
	v_fma_f64 v[20:21], v[80:81], s[44:45], v[18:19]
	v_fma_f64 v[18:19], v[80:81], s[44:45], -v[18:19]
	v_add_f64_e32 v[234:235], v[4:5], v[24:25]
	v_mul_f64_e32 v[4:5], s[8:9], v[86:87]
	v_add_f64_e32 v[242:243], v[10:11], v[26:27]
	s_delay_alu instid0(VALU_DEP_4) | instskip(NEXT) | instid1(VALU_DEP_3)
	v_add_f64_e32 v[26:27], v[18:19], v[52:53]
	v_fma_f64 v[6:7], v[80:81], s[2:3], v[4:5]
	v_fma_f64 v[4:5], v[80:81], s[2:3], -v[4:5]
	s_delay_alu instid0(VALU_DEP_2) | instskip(SKIP_1) | instid1(VALU_DEP_3)
	v_add_f64_e32 v[244:245], v[6:7], v[30:31]
	v_mul_f64_e32 v[6:7], s[2:3], v[82:83]
	v_add_f64_e32 v[4:5], v[4:5], v[28:29]
	v_add_f64_e32 v[28:29], v[20:21], v[57:58]
	v_mul_f64_e32 v[20:21], s[44:45], v[82:83]
	s_delay_alu instid0(VALU_DEP_4) | instskip(SKIP_1) | instid1(VALU_DEP_3)
	v_fma_f64 v[10:11], v[84:85], s[50:51], v[6:7]
	v_fma_f64 v[6:7], v[84:85], s[8:9], v[6:7]
	;; [unrolled: 1-line block ×4, first 2 shown]
	s_delay_alu instid0(VALU_DEP_4)
	v_add_f64_e32 v[246:247], v[10:11], v[36:37]
	v_mul_f64_e32 v[10:11], s[54:55], v[86:87]
	v_add_f64_e32 v[6:7], v[6:7], v[32:33]
	v_mul_f64_e32 v[32:33], s[18:19], v[82:83]
	v_add_f64_e32 v[30:31], v[22:23], v[63:64]
	v_add_f64_e32 v[24:25], v[18:19], v[59:60]
	v_mul_f64_e32 v[18:19], s[48:49], v[86:87]
	v_fma_f64 v[12:13], v[80:81], s[24:25], v[10:11]
	v_fma_f64 v[10:11], v[80:81], s[24:25], -v[10:11]
	v_fma_f64 v[22:23], v[84:85], s[20:21], v[32:33]
	v_fma_f64 v[32:33], v[84:85], s[48:49], v[32:33]
	;; [unrolled: 1-line block ×3, first 2 shown]
	v_fma_f64 v[18:19], v[80:81], s[18:19], -v[18:19]
	v_add_f64_e32 v[252:253], v[12:13], v[38:39]
	v_mul_f64_e32 v[12:13], s[24:25], v[82:83]
	v_add_f64_e32 v[248:249], v[10:11], v[34:35]
	v_add_f64_e32 v[52:53], v[32:33], v[70:71]
	v_mul_f64_e32 v[32:33], s[10:11], v[86:87]
	v_add_f64_e32 v[20:21], v[20:21], v[68:69]
	v_add_f64_e32 v[18:19], v[18:19], v[66:67]
	;; [unrolled: 1-line block ×3, first 2 shown]
	v_fma_f64 v[14:15], v[84:85], s[22:23], v[12:13]
	v_fma_f64 v[10:11], v[84:85], s[54:55], v[12:13]
	;; [unrolled: 1-line block ×3, first 2 shown]
	v_fma_f64 v[32:33], v[80:81], s[12:13], -v[32:33]
	s_delay_alu instid0(VALU_DEP_4) | instskip(SKIP_2) | instid1(VALU_DEP_2)
	v_add_f64_e32 v[254:255], v[14:15], v[42:43]
	v_mul_f64_e32 v[14:15], s[28:29], v[86:87]
	v_add_f64_e32 v[250:251], v[10:11], v[40:41]
	v_fma_f64 v[10:11], v[80:81], s[26:27], v[14:15]
	v_fma_f64 v[14:15], v[80:81], s[26:27], -v[14:15]
	s_delay_alu instid0(VALU_DEP_2) | instskip(SKIP_4) | instid1(VALU_DEP_4)
	v_add_f64_e32 v[12:13], v[10:11], v[46:47]
	v_fma_f64 v[10:11], v[84:85], s[46:47], v[16:17]
	v_fma_f64 v[16:17], v[84:85], s[28:29], v[16:17]
	v_add_f64_e32 v[46:47], v[32:33], v[78:79]
	v_add_f64_e32 v[14:15], v[14:15], v[44:45]
	;; [unrolled: 1-line block ×4, first 2 shown]
	v_mul_f64_e32 v[34:35], s[12:13], v[82:83]
	v_add_f64_e32 v[16:17], v[16:17], v[48:49]
	s_delay_alu instid0(VALU_DEP_2) | instskip(SKIP_2) | instid1(VALU_DEP_3)
	v_fma_f64 v[36:37], v[84:85], s[30:31], v[34:35]
	v_fma_f64 v[32:33], v[84:85], s[10:11], v[34:35]
	v_add_f64_e32 v[34:35], v[224:225], v[228:229]
	v_add_f64_e32 v[48:49], v[36:37], v[76:77]
	v_add_f64_e64 v[36:37], v[226:227], -v[230:231]
	s_delay_alu instid0(VALU_DEP_4) | instskip(SKIP_2) | instid1(VALU_DEP_4)
	v_add_f64_e32 v[44:45], v[32:33], v[8:9]
	v_add_f64_e32 v[8:9], v[226:227], v[230:231]
	v_add_f64_e64 v[32:33], v[224:225], -v[228:229]
	v_mul_f64_e32 v[38:39], s[40:41], v[36:37]
	s_delay_alu instid0(VALU_DEP_1) | instskip(SKIP_1) | instid1(VALU_DEP_2)
	v_fma_f64 v[40:41], v[34:35], s[44:45], v[38:39]
	v_fma_f64 v[38:39], v[34:35], s[44:45], -v[38:39]
	v_add_f64_e32 v[236:237], v[40:41], v[236:237]
	v_mul_f64_e32 v[40:41], s[44:45], v[8:9]
	s_delay_alu instid0(VALU_DEP_3) | instskip(NEXT) | instid1(VALU_DEP_2)
	v_add_f64_e32 v[224:225], v[38:39], v[0:1]
	v_fma_f64 v[0:1], v[32:33], s[40:41], v[40:41]
	v_fma_f64 v[42:43], v[32:33], s[52:53], v[40:41]
	s_delay_alu instid0(VALU_DEP_2) | instskip(SKIP_1) | instid1(VALU_DEP_3)
	v_add_f64_e32 v[226:227], v[0:1], v[2:3]
	v_mul_f64_e32 v[0:1], s[46:47], v[36:37]
	v_add_f64_e32 v[238:239], v[42:43], v[238:239]
	s_delay_alu instid0(VALU_DEP_2) | instskip(SKIP_1) | instid1(VALU_DEP_2)
	v_fma_f64 v[2:3], v[34:35], s[26:27], v[0:1]
	v_fma_f64 v[0:1], v[34:35], s[26:27], -v[0:1]
	v_add_f64_e32 v[240:241], v[2:3], v[240:241]
	v_mul_f64_e32 v[2:3], s[26:27], v[8:9]
	s_delay_alu instid0(VALU_DEP_3) | instskip(NEXT) | instid1(VALU_DEP_2)
	v_add_f64_e32 v[232:233], v[0:1], v[232:233]
	v_fma_f64 v[0:1], v[32:33], s[46:47], v[2:3]
	v_fma_f64 v[38:39], v[32:33], s[28:29], v[2:3]
	s_delay_alu instid0(VALU_DEP_2) | instskip(SKIP_1) | instid1(VALU_DEP_3)
	v_add_f64_e32 v[234:235], v[0:1], v[234:235]
	v_mul_f64_e32 v[0:1], s[36:37], v[36:37]
	v_add_f64_e32 v[242:243], v[38:39], v[242:243]
	s_delay_alu instid0(VALU_DEP_2) | instskip(SKIP_1) | instid1(VALU_DEP_2)
	;; [unrolled: 13-line block ×4, first 2 shown]
	v_fma_f64 v[2:3], v[34:35], s[24:25], v[0:1]
	v_fma_f64 v[0:1], v[34:35], s[24:25], -v[0:1]
	v_add_f64_e32 v[4:5], v[2:3], v[12:13]
	v_mul_f64_e32 v[2:3], s[24:25], v[8:9]
	s_delay_alu instid0(VALU_DEP_3) | instskip(SKIP_1) | instid1(VALU_DEP_3)
	v_add_f64_e32 v[0:1], v[0:1], v[14:15]
	v_mul_f64_e32 v[14:15], s[34:35], v[36:37]
	v_fma_f64 v[6:7], v[32:33], s[54:55], v[2:3]
	v_fma_f64 v[2:3], v[32:33], s[22:23], v[2:3]
	s_delay_alu instid0(VALU_DEP_2) | instskip(NEXT) | instid1(VALU_DEP_2)
	v_add_f64_e32 v[6:7], v[6:7], v[10:11]
	v_add_f64_e32 v[2:3], v[2:3], v[16:17]
	v_mul_f64_e32 v[16:17], s[14:15], v[8:9]
	v_fma_f64 v[10:11], v[34:35], s[14:15], v[14:15]
	v_fma_f64 v[14:15], v[34:35], s[14:15], -v[14:15]
	s_delay_alu instid0(VALU_DEP_3) | instskip(SKIP_1) | instid1(VALU_DEP_3)
	v_fma_f64 v[12:13], v[32:33], s[16:17], v[16:17]
	v_fma_f64 v[16:17], v[32:33], s[34:35], v[16:17]
	v_add_f64_e32 v[14:15], v[14:15], v[26:27]
	v_add_f64_e32 v[10:11], v[10:11], v[28:29]
	s_delay_alu instid0(VALU_DEP_4) | instskip(NEXT) | instid1(VALU_DEP_4)
	v_add_f64_e32 v[12:13], v[12:13], v[30:31]
	v_add_f64_e32 v[16:17], v[16:17], v[24:25]
	v_mul_f64_e32 v[24:25], s[10:11], v[36:37]
	s_delay_alu instid0(VALU_DEP_1) | instskip(SKIP_1) | instid1(VALU_DEP_2)
	v_fma_f64 v[26:27], v[34:35], s[12:13], v[24:25]
	v_fma_f64 v[24:25], v[34:35], s[12:13], -v[24:25]
	v_add_f64_e32 v[20:21], v[26:27], v[20:21]
	v_mul_f64_e32 v[26:27], s[12:13], v[8:9]
	s_delay_alu instid0(VALU_DEP_3) | instskip(SKIP_1) | instid1(VALU_DEP_3)
	v_add_f64_e32 v[24:25], v[24:25], v[18:19]
	v_mul_f64_e32 v[8:9], s[2:3], v[8:9]
	v_fma_f64 v[18:19], v[32:33], s[10:11], v[26:27]
	v_fma_f64 v[28:29], v[32:33], s[30:31], v[26:27]
	s_delay_alu instid0(VALU_DEP_3) | instskip(SKIP_1) | instid1(VALU_DEP_4)
	v_fma_f64 v[30:31], v[32:33], s[8:9], v[8:9]
	v_fma_f64 v[8:9], v[32:33], s[50:51], v[8:9]
	v_add_f64_e32 v[26:27], v[18:19], v[52:53]
	v_mul_f64_e32 v[18:19], s[50:51], v[36:37]
	v_add_f64_e32 v[22:23], v[28:29], v[22:23]
	v_add_f64_e32 v[30:31], v[30:31], v[48:49]
	;; [unrolled: 1-line block ×3, first 2 shown]
	s_delay_alu instid0(VALU_DEP_4) | instskip(SKIP_1) | instid1(VALU_DEP_2)
	v_fma_f64 v[28:29], v[34:35], s[2:3], v[18:19]
	v_fma_f64 v[18:19], v[34:35], s[2:3], -v[18:19]
	v_add_f64_e32 v[28:29], v[28:29], v[50:51]
	s_delay_alu instid0(VALU_DEP_2)
	v_add_f64_e32 v[34:35], v[18:19], v[46:47]
	ds_store_b128 v54, v[220:223]
	ds_store_b128 v54, v[236:239] offset:16
	ds_store_b128 v54, v[240:243] offset:32
	;; [unrolled: 1-line block ×16, first 2 shown]
	global_wb scope:SCOPE_SE
	s_wait_dscnt 0x0
	s_barrier_signal -1
	s_barrier_wait -1
	global_inv scope:SCOPE_SE
	ds_load_b128 v[236:239], v62
	ds_load_b128 v[28:31], v62 offset:4624
	ds_load_b128 v[20:23], v62 offset:9248
	;; [unrolled: 1-line block ×13, first 2 shown]
	s_and_saveexec_b32 s2, vcc_lo
	s_cbranch_execz .LBB0_7
; %bb.6:
	ds_load_b128 v[228:231], v62 offset:3808
	ds_load_b128 v[232:235], v62 offset:8432
	;; [unrolled: 1-line block ×4, first 2 shown]
	s_wait_dscnt 0x0
	scratch_store_b128 off, v[32:35], off   ; 16-byte Folded Spill
	ds_load_b128 v[32:35], v62 offset:22304
	s_wait_dscnt 0x0
	scratch_store_b128 off, v[32:35], off offset:16 ; 16-byte Folded Spill
	ds_load_b128 v[32:35], v62 offset:26928
	s_wait_dscnt 0x0
	scratch_store_b128 off, v[32:35], off offset:32 ; 16-byte Folded Spill
	;; [unrolled: 3-line block ×3, first 2 shown]
.LBB0_7:
	s_wait_alu 0xfffe
	s_or_b32 exec_lo, exec_lo, s2
	s_wait_dscnt 0x5
	v_mul_f64_e32 v[36:37], v[182:183], v[14:15]
	v_mul_f64_e32 v[32:33], v[150:151], v[30:31]
	;; [unrolled: 1-line block ×3, first 2 shown]
	s_mov_b32 s14, 0xe976ee23
	s_mov_b32 s15, 0x3fe11646
	;; [unrolled: 1-line block ×18, first 2 shown]
	s_wait_alu 0xfffe
	s_mov_b32 s22, s20
	s_mov_b32 s18, s2
	global_wb scope:SCOPE_SE
	s_wait_storecnt_dscnt 0x0
	s_barrier_signal -1
	s_barrier_wait -1
	global_inv scope:SCOPE_SE
	v_fma_f64 v[36:37], v[180:181], v[12:13], v[36:37]
	v_mul_f64_e32 v[12:13], v[182:183], v[12:13]
	v_fma_f64 v[32:33], v[148:149], v[28:29], v[32:33]
	v_mul_f64_e32 v[28:29], v[150:151], v[28:29]
	v_fma_f64 v[34:35], v[176:177], v[254:255], -v[34:35]
	s_delay_alu instid0(VALU_DEP_4) | instskip(SKIP_1) | instid1(VALU_DEP_4)
	v_fma_f64 v[38:39], v[180:181], v[14:15], -v[12:13]
	v_mul_f64_e32 v[12:13], v[186:187], v[10:11]
	v_fma_f64 v[28:29], v[148:149], v[30:31], -v[28:29]
	v_mul_f64_e32 v[30:31], v[170:171], v[22:23]
	s_delay_alu instid0(VALU_DEP_3) | instskip(SKIP_1) | instid1(VALU_DEP_3)
	v_fma_f64 v[40:41], v[184:185], v[8:9], v[12:13]
	v_mul_f64_e32 v[8:9], v[186:187], v[8:9]
	v_fma_f64 v[30:31], v[168:169], v[20:21], v[30:31]
	v_mul_f64_e32 v[20:21], v[170:171], v[20:21]
	s_delay_alu instid0(VALU_DEP_3) | instskip(SKIP_1) | instid1(VALU_DEP_3)
	v_fma_f64 v[42:43], v[184:185], v[10:11], -v[8:9]
	v_mul_f64_e32 v[8:9], v[190:191], v[18:19]
	v_fma_f64 v[20:21], v[168:169], v[22:23], -v[20:21]
	v_mul_f64_e32 v[22:23], v[174:175], v[26:27]
	s_delay_alu instid0(VALU_DEP_3) | instskip(SKIP_1) | instid1(VALU_DEP_3)
	v_fma_f64 v[44:45], v[188:189], v[16:17], v[8:9]
	v_mul_f64_e32 v[8:9], v[190:191], v[16:17]
	v_fma_f64 v[22:23], v[172:173], v[24:25], v[22:23]
	v_mul_f64_e32 v[24:25], v[174:175], v[24:25]
	v_add_f64_e32 v[72:73], v[20:21], v[34:35]
	v_add_f64_e32 v[78:79], v[36:37], v[44:45]
	v_fma_f64 v[46:47], v[188:189], v[18:19], -v[8:9]
	v_mul_f64_e32 v[8:9], v[194:195], v[250:251]
	v_fma_f64 v[24:25], v[172:173], v[26:27], -v[24:25]
	v_mul_f64_e32 v[26:27], v[178:179], v[254:255]
	v_add_f64_e32 v[16:17], v[32:33], v[22:23]
	v_add_f64_e64 v[22:23], v[32:33], -v[22:23]
	v_add_f64_e64 v[44:45], v[36:37], -v[44:45]
	v_add_f64_e32 v[86:87], v[38:39], v[46:47]
	v_fma_f64 v[48:49], v[192:193], v[248:249], v[8:9]
	v_mul_f64_e32 v[8:9], v[194:195], v[248:249]
	v_fma_f64 v[26:27], v[176:177], v[252:253], v[26:27]
	v_add_f64_e32 v[70:71], v[28:29], v[24:25]
	v_add_f64_e64 v[24:25], v[28:29], -v[24:25]
	v_add_f64_e64 v[46:47], v[38:39], -v[46:47]
	v_add_f64_e32 v[80:81], v[40:41], v[48:49]
	v_fma_f64 v[50:51], v[192:193], v[250:251], -v[8:9]
	v_mul_f64_e32 v[8:9], v[162:163], v[6:7]
	v_add_f64_e32 v[18:19], v[30:31], v[26:27]
	v_add_f64_e64 v[26:27], v[30:31], -v[26:27]
	s_delay_alu instid0(VALU_DEP_4) | instskip(NEXT) | instid1(VALU_DEP_4)
	v_add_f64_e32 v[148:149], v[42:43], v[50:51]
	v_fma_f64 v[8:9], v[160:161], v[4:5], v[8:9]
	v_mul_f64_e32 v[4:5], v[162:163], v[4:5]
	s_delay_alu instid0(VALU_DEP_4) | instskip(NEXT) | instid1(VALU_DEP_2)
	v_add_f64_e64 v[28:29], v[26:27], -v[22:23]
	v_fma_f64 v[10:11], v[160:161], v[6:7], -v[4:5]
	v_mul_f64_e32 v[4:5], v[166:167], v[2:3]
	s_delay_alu instid0(VALU_DEP_1) | instskip(SKIP_2) | instid1(VALU_DEP_3)
	v_fma_f64 v[12:13], v[164:165], v[0:1], v[4:5]
	v_mul_f64_e32 v[0:1], v[166:167], v[0:1]
	v_add_f64_e32 v[4:5], v[80:81], v[78:79]
	v_add_f64_e64 v[30:31], v[12:13], -v[8:9]
	s_delay_alu instid0(VALU_DEP_3)
	v_fma_f64 v[14:15], v[164:165], v[2:3], -v[0:1]
	v_mul_f64_e32 v[0:1], v[198:199], v[246:247]
	v_add_f64_e32 v[66:67], v[8:9], v[12:13]
	v_add_f64_e64 v[8:9], v[20:21], -v[34:35]
	v_add_f64_e32 v[12:13], v[30:31], v[26:27]
	v_add_f64_e32 v[74:75], v[10:11], v[14:15]
	v_fma_f64 v[52:53], v[196:197], v[244:245], v[0:1]
	v_mul_f64_e32 v[0:1], v[198:199], v[244:245]
	v_add_f64_e64 v[20:21], v[14:15], -v[10:11]
	v_add_f64_e64 v[10:11], v[30:31], -v[26:27]
	;; [unrolled: 1-line block ×5, first 2 shown]
	v_add_f64_e32 v[166:167], v[12:13], v[22:23]
	v_add_f64_e64 v[34:35], v[74:75], -v[72:73]
	v_fma_f64 v[57:58], v[196:197], v[246:247], -v[0:1]
	v_mul_f64_e32 v[0:1], v[202:203], v[242:243]
	v_add_f64_e64 v[14:15], v[20:21], -v[8:9]
	v_mul_f64_e32 v[162:163], s[14:15], v[10:11]
	v_add_f64_e32 v[8:9], v[20:21], v[8:9]
	v_mul_f64_e32 v[22:23], s[8:9], v[26:27]
	v_mul_f64_e32 v[10:11], s[12:13], v[34:35]
	v_fma_f64 v[59:60], v[200:201], v[240:241], v[0:1]
	v_mul_f64_e32 v[0:1], v[202:203], v[240:241]
	v_mul_f64_e32 v[164:165], s[14:15], v[14:15]
	v_fma_f64 v[12:13], v[28:29], s[8:9], -v[162:163]
	v_add_f64_e32 v[168:169], v[8:9], v[24:25]
	v_mul_f64_e32 v[8:9], s[12:13], v[32:33]
	v_add_f64_e64 v[24:25], v[24:25], -v[20:21]
	v_mul_f64_e32 v[20:21], s[8:9], v[28:29]
	v_add_f64_e32 v[82:83], v[52:53], v[59:60]
	v_fma_f64 v[63:64], v[200:201], v[242:243], -v[0:1]
	v_add_f64_e32 v[0:1], v[18:19], v[16:17]
	v_add_f64_e64 v[18:19], v[18:19], -v[16:17]
	v_add_f64_e64 v[16:17], v[16:17], -v[66:67]
	v_fma_f64 v[14:15], v[166:167], s[16:17], v[12:13]
	v_fma_f64 v[12:13], v[26:27], s[8:9], -v[164:165]
	v_add_f64_e32 v[84:85], v[82:83], v[4:5]
	v_add_f64_e32 v[150:151], v[57:58], v[63:64]
	;; [unrolled: 1-line block ×4, first 2 shown]
	v_add_f64_e64 v[66:67], v[70:71], -v[74:75]
	v_add_f64_e64 v[72:73], v[72:73], -v[70:71]
	v_mul_f64_e32 v[26:27], s[24:25], v[16:17]
	v_fma_f64 v[8:9], v[18:19], s[2:3], -v[8:9]
	s_wait_alu 0xfffe
	v_fma_f64 v[16:17], v[30:31], s[22:23], -v[20:21]
	v_fma_f64 v[20:21], v[24:25], s[22:23], -v[22:23]
	v_fma_f64 v[24:25], v[24:25], s[20:21], v[164:165]
	v_fma_f64 v[30:31], v[30:31], s[20:21], v[162:163]
	v_add_f64_e32 v[4:5], v[148:149], v[86:87]
	v_fma_f64 v[12:13], v[168:169], s[16:17], v[12:13]
	v_add_f64_e32 v[76:77], v[74:75], v[0:1]
	v_add_f64_e32 v[0:1], v[236:237], v[68:69]
	v_mul_f64_e32 v[28:29], s[24:25], v[66:67]
	v_fma_f64 v[18:19], v[18:19], s[18:19], -v[26:27]
	v_fma_f64 v[26:27], v[32:33], s[12:13], v[26:27]
	v_fma_f64 v[66:67], v[166:167], s[16:17], v[16:17]
	;; [unrolled: 1-line block ×5, first 2 shown]
	v_add_f64_e32 v[160:161], v[150:151], v[4:5]
	v_add_f64_e32 v[4:5], v[220:221], v[84:85]
	v_fma_f64 v[10:11], v[72:73], s[2:3], -v[10:11]
	v_add_f64_e32 v[2:3], v[238:239], v[76:77]
	v_fma_f64 v[68:69], v[68:69], s[10:11], v[0:1]
	v_fma_f64 v[22:23], v[72:73], s[18:19], -v[28:29]
	v_fma_f64 v[28:29], v[34:35], s[12:13], v[28:29]
	v_add_f64_e32 v[6:7], v[222:223], v[160:161]
	v_fma_f64 v[74:75], v[84:85], s[10:11], v[4:5]
	v_fma_f64 v[76:77], v[76:77], s[10:11], v[2:3]
	v_add_f64_e32 v[34:35], v[26:27], v[68:69]
	v_add_f64_e32 v[70:71], v[18:19], v[68:69]
	;; [unrolled: 1-line block ×3, first 2 shown]
	s_delay_alu instid0(VALU_DEP_4) | instskip(NEXT) | instid1(VALU_DEP_4)
	v_add_f64_e32 v[22:23], v[22:23], v[76:77]
	v_add_f64_e32 v[24:25], v[32:33], v[34:35]
	s_delay_alu instid0(VALU_DEP_4)
	v_add_f64_e32 v[16:17], v[20:21], v[70:71]
	v_add_f64_e64 v[20:21], v[70:71], -v[20:21]
	v_add_f64_e32 v[172:173], v[10:11], v[76:77]
	v_add_f64_e64 v[8:9], v[170:171], -v[12:13]
	;; [unrolled: 2-line block ×3, first 2 shown]
	v_add_f64_e32 v[22:23], v[66:67], v[22:23]
	v_add_f64_e32 v[66:67], v[28:29], v[76:77]
	v_add_f64_e64 v[28:29], v[34:35], -v[32:33]
	v_add_f64_e64 v[32:33], v[40:41], -v[48:49]
	;; [unrolled: 1-line block ×9, first 2 shown]
	v_fma_f64 v[76:77], v[160:161], s[10:11], v[6:7]
	v_add_f64_e64 v[78:79], v[78:79], -v[82:83]
	v_add_f64_e32 v[10:11], v[14:15], v[172:173]
	v_add_f64_e64 v[14:15], v[172:173], -v[14:15]
	v_add_f64_e64 v[26:27], v[66:67], -v[30:31]
	v_add_f64_e32 v[30:31], v[30:31], v[66:67]
	v_add_f64_e64 v[48:49], v[32:33], -v[44:45]
	;; [unrolled: 3-line block ×4, first 2 shown]
	v_mul_f64_e32 v[40:41], s[8:9], v[48:49]
	v_mul_f64_e32 v[66:67], s[14:15], v[36:37]
	v_add_f64_e32 v[70:71], v[32:33], v[44:45]
	v_mul_f64_e32 v[68:69], s[14:15], v[38:39]
	v_mul_f64_e32 v[32:33], s[12:13], v[52:53]
	v_add_f64_e32 v[72:73], v[34:35], v[46:47]
	v_mul_f64_e32 v[34:35], s[12:13], v[59:60]
	v_fma_f64 v[40:41], v[82:83], s[22:23], -v[40:41]
	v_fma_f64 v[36:37], v[48:49], s[8:9], -v[66:67]
	v_mul_f64_e32 v[48:49], s[24:25], v[78:79]
	v_fma_f64 v[32:33], v[57:58], s[2:3], -v[32:33]
	v_fma_f64 v[34:35], v[63:64], s[2:3], -v[34:35]
	s_delay_alu instid0(VALU_DEP_4)
	v_fma_f64 v[38:39], v[70:71], s[16:17], v[36:37]
	v_fma_f64 v[36:37], v[50:51], s[8:9], -v[68:69]
	v_fma_f64 v[44:45], v[57:58], s[18:19], -v[48:49]
	v_add_f64_e32 v[80:81], v[32:33], v[74:75]
	v_fma_f64 v[57:58], v[70:71], s[16:17], v[40:41]
	v_add_f64_e32 v[84:85], v[34:35], v[76:77]
	v_fma_f64 v[48:49], v[52:53], s[12:13], v[48:49]
	v_fma_f64 v[36:37], v[72:73], s[16:17], v[36:37]
	v_add_f64_e32 v[44:45], v[44:45], v[74:75]
	s_delay_alu instid0(VALU_DEP_4)
	v_add_f64_e32 v[34:35], v[38:39], v[84:85]
	v_add_f64_e64 v[38:39], v[84:85], -v[38:39]
	v_add_f64_e64 v[84:85], v[46:47], -v[42:43]
	v_mul_f64_e32 v[42:43], s[8:9], v[50:51]
	v_add_f64_e64 v[32:33], v[80:81], -v[36:37]
	v_add_f64_e32 v[36:37], v[36:37], v[80:81]
	v_add_f64_e64 v[80:81], v[86:87], -v[150:151]
	s_delay_alu instid0(VALU_DEP_4) | instskip(NEXT) | instid1(VALU_DEP_2)
	v_fma_f64 v[42:43], v[84:85], s[22:23], -v[42:43]
	v_mul_f64_e32 v[50:51], s[24:25], v[80:81]
	s_delay_alu instid0(VALU_DEP_1) | instskip(NEXT) | instid1(VALU_DEP_3)
	v_fma_f64 v[46:47], v[63:64], s[18:19], -v[50:51]
	v_fma_f64 v[63:64], v[72:73], s[16:17], v[42:43]
	v_fma_f64 v[50:51], v[59:60], s[12:13], v[50:51]
	v_add_f64_e32 v[59:60], v[48:49], v[74:75]
	s_delay_alu instid0(VALU_DEP_4) | instskip(NEXT) | instid1(VALU_DEP_4)
	v_add_f64_e32 v[46:47], v[46:47], v[76:77]
	v_add_f64_e32 v[40:41], v[63:64], v[44:45]
	v_add_f64_e64 v[44:45], v[44:45], -v[63:64]
	v_fma_f64 v[63:64], v[84:85], s[20:21], v[68:69]
	s_delay_alu instid0(VALU_DEP_4) | instskip(SKIP_2) | instid1(VALU_DEP_1)
	v_add_f64_e64 v[42:43], v[46:47], -v[57:58]
	v_add_f64_e32 v[46:47], v[57:58], v[46:47]
	v_fma_f64 v[57:58], v[82:83], s[20:21], v[66:67]
	v_fma_f64 v[52:53], v[70:71], s[16:17], v[57:58]
	;; [unrolled: 1-line block ×3, first 2 shown]
	v_add_f64_e32 v[63:64], v[50:51], v[76:77]
	s_delay_alu instid0(VALU_DEP_2) | instskip(NEXT) | instid1(VALU_DEP_2)
	v_add_f64_e32 v[48:49], v[57:58], v[59:60]
	v_add_f64_e64 v[50:51], v[63:64], -v[52:53]
	v_add_f64_e64 v[57:58], v[59:60], -v[57:58]
	v_add_f64_e32 v[59:60], v[52:53], v[63:64]
	ds_store_b128 v55, v[0:3]
	ds_store_b128 v55, v[24:27] offset:272
	ds_store_b128 v55, v[16:19] offset:544
	;; [unrolled: 1-line block ×6, first 2 shown]
	ds_store_b128 v56, v[4:7]
	ds_store_b128 v56, v[48:51] offset:272
	ds_store_b128 v56, v[40:43] offset:544
	;; [unrolled: 1-line block ×6, first 2 shown]
	s_and_saveexec_b32 s26, vcc_lo
	s_cbranch_execz .LBB0_9
; %bb.8:
	s_clause 0x6
	scratch_load_b128 v[32:35], off, off offset:408 th:TH_LOAD_LU
	scratch_load_b128 v[54:57], off, off offset:48 th:TH_LOAD_LU
	;; [unrolled: 1-line block ×7, first 2 shown]
	s_wait_loadcnt 0x5
	v_mul_f64_e32 v[0:1], v[34:35], v[54:55]
	s_wait_loadcnt 0x4
	v_mul_f64_e32 v[2:3], v[26:27], v[232:233]
	s_wait_loadcnt 0x2
	v_mul_f64_e32 v[4:5], v[38:39], v[50:51]
	v_mul_f64_e32 v[14:15], v[38:39], v[52:53]
	s_clause 0x1
	scratch_load_b128 v[38:41], off, off offset:440 th:TH_LOAD_LU
	scratch_load_b128 v[42:45], off, off th:TH_LOAD_LU
	s_wait_loadcnt 0x3
	v_mul_f64_e32 v[6:7], v[30:31], v[224:225]
	v_mul_f64_e32 v[8:9], v[26:27], v[234:235]
	;; [unrolled: 1-line block ×4, first 2 shown]
	s_wait_loadcnt 0x2
	v_mul_f64_e32 v[16:17], v[90:91], v[48:49]
	v_mul_f64_e32 v[22:23], v[90:91], v[46:47]
	v_fma_f64 v[0:1], v[32:33], v[56:57], -v[0:1]
	v_fma_f64 v[2:3], v[24:25], v[234:235], -v[2:3]
	;; [unrolled: 1-line block ×3, first 2 shown]
	v_fma_f64 v[14:15], v[36:37], v[50:51], v[14:15]
	v_fma_f64 v[6:7], v[28:29], v[226:227], -v[6:7]
	v_fma_f64 v[8:9], v[24:25], v[232:233], v[8:9]
	v_fma_f64 v[10:11], v[32:33], v[54:55], v[10:11]
	;; [unrolled: 1-line block ×4, first 2 shown]
	v_fma_f64 v[22:23], v[88:89], v[48:49], -v[22:23]
	v_add_f64_e32 v[24:25], v[2:3], v[0:1]
	v_add_f64_e32 v[26:27], v[6:7], v[4:5]
	v_add_f64_e64 v[4:5], v[6:7], -v[4:5]
	v_add_f64_e32 v[28:29], v[8:9], v[10:11]
	v_add_f64_e32 v[30:31], v[12:13], v[14:15]
	v_add_f64_e64 v[12:13], v[12:13], -v[14:15]
	v_add_f64_e64 v[8:9], v[8:9], -v[10:11]
	;; [unrolled: 1-line block ×3, first 2 shown]
	v_add_f64_e32 v[10:11], v[26:27], v[24:25]
	v_add_f64_e32 v[0:1], v[30:31], v[28:29]
	s_delay_alu instid0(VALU_DEP_4) | instskip(SKIP_3) | instid1(VALU_DEP_2)
	v_add_f64_e64 v[34:35], v[12:13], -v[8:9]
	s_wait_loadcnt 0x0
	v_mul_f64_e32 v[18:19], v[40:41], v[44:45]
	v_mul_f64_e32 v[20:21], v[40:41], v[42:43]
	v_fma_f64 v[18:19], v[38:39], v[42:43], v[18:19]
	s_delay_alu instid0(VALU_DEP_2) | instskip(SKIP_2) | instid1(VALU_DEP_4)
	v_fma_f64 v[20:21], v[38:39], v[44:45], -v[20:21]
	v_add_f64_e64 v[38:39], v[4:5], -v[6:7]
	v_mul_f64_e32 v[44:45], s[8:9], v[34:35]
	v_add_f64_e64 v[32:33], v[16:17], -v[18:19]
	s_delay_alu instid0(VALU_DEP_4)
	v_add_f64_e32 v[14:15], v[20:21], v[22:23]
	v_add_f64_e32 v[16:17], v[18:19], v[16:17]
	v_add_f64_e64 v[18:19], v[22:23], -v[20:21]
	v_mul_f64_e32 v[46:47], s[8:9], v[38:39]
	v_add_f64_e64 v[2:3], v[32:33], -v[12:13]
	v_add_f64_e64 v[20:21], v[24:25], -v[14:15]
	;; [unrolled: 1-line block ×3, first 2 shown]
	v_add_f64_e32 v[10:11], v[14:15], v[10:11]
	v_add_f64_e64 v[14:15], v[14:15], -v[26:27]
	v_add_f64_e64 v[36:37], v[18:19], -v[4:5]
	v_add_f64_e32 v[40:41], v[16:17], v[0:1]
	v_add_f64_e64 v[16:17], v[16:17], -v[30:31]
	v_add_f64_e64 v[42:43], v[8:9], -v[32:33]
	v_add_f64_e32 v[12:13], v[32:33], v[12:13]
	v_add_f64_e32 v[4:5], v[18:19], v[4:5]
	v_add_f64_e64 v[18:19], v[6:7], -v[18:19]
	v_add_f64_e64 v[24:25], v[26:27], -v[24:25]
	;; [unrolled: 1-line block ×3, first 2 shown]
	v_mul_f64_e32 v[32:33], s[14:15], v[2:3]
	v_mul_f64_e32 v[20:21], s[24:25], v[20:21]
	v_mul_f64_e32 v[22:23], s[24:25], v[22:23]
	v_add_f64_e32 v[2:3], v[230:231], v[10:11]
	v_mul_f64_e32 v[26:27], s[12:13], v[14:15]
	v_mul_f64_e32 v[36:37], s[14:15], v[36:37]
	v_add_f64_e32 v[0:1], v[228:229], v[40:41]
	v_mul_f64_e32 v[30:31], s[12:13], v[16:17]
	v_add_f64_e32 v[8:9], v[12:13], v[8:9]
	v_add_f64_e32 v[4:5], v[4:5], v[6:7]
	v_fma_f64 v[6:7], v[42:43], s[20:21], v[32:33]
	v_fma_f64 v[12:13], v[14:15], s[12:13], v[20:21]
	;; [unrolled: 1-line block ×3, first 2 shown]
	v_fma_f64 v[16:17], v[42:43], s[22:23], -v[44:45]
	v_fma_f64 v[32:33], v[34:35], s[8:9], -v[32:33]
	v_fma_f64 v[10:11], v[10:11], s[10:11], v[2:3]
	v_fma_f64 v[20:21], v[24:25], s[18:19], -v[20:21]
	v_fma_f64 v[24:25], v[24:25], s[2:3], -v[26:27]
	v_fma_f64 v[26:27], v[18:19], s[20:21], v[36:37]
	v_fma_f64 v[18:19], v[18:19], s[22:23], -v[46:47]
	v_fma_f64 v[34:35], v[38:39], s[8:9], -v[36:37]
	v_fma_f64 v[36:37], v[40:41], s[10:11], v[0:1]
	v_fma_f64 v[22:23], v[28:29], s[18:19], -v[22:23]
	v_fma_f64 v[28:29], v[28:29], s[2:3], -v[30:31]
	v_fma_f64 v[30:31], v[8:9], s[16:17], v[6:7]
	v_fma_f64 v[16:17], v[8:9], s[16:17], v[16:17]
	v_fma_f64 v[8:9], v[8:9], s[16:17], v[32:33]
	v_add_f64_e32 v[12:13], v[12:13], v[10:11]
	v_add_f64_e32 v[20:21], v[20:21], v[10:11]
	;; [unrolled: 1-line block ×3, first 2 shown]
	v_fma_f64 v[32:33], v[4:5], s[16:17], v[26:27]
	v_fma_f64 v[38:39], v[4:5], s[16:17], v[18:19]
	;; [unrolled: 1-line block ×3, first 2 shown]
	v_add_f64_e32 v[34:35], v[14:15], v[36:37]
	v_add_f64_e32 v[40:41], v[22:23], v[36:37]
	;; [unrolled: 1-line block ×5, first 2 shown]
	v_add_f64_e64 v[22:23], v[20:21], -v[16:17]
	v_add_f64_e64 v[26:27], v[12:13], -v[30:31]
	;; [unrolled: 1-line block ×3, first 2 shown]
	v_add_f64_e32 v[18:19], v[8:9], v[24:25]
	v_add_f64_e32 v[24:25], v[32:33], v[34:35]
	;; [unrolled: 1-line block ×3, first 2 shown]
	v_add_f64_e64 v[16:17], v[28:29], -v[4:5]
	v_add_f64_e32 v[12:13], v[4:5], v[28:29]
	s_clause 0x1
	scratch_load_b32 v28, off, off offset:344 th:TH_LOAD_LU
	scratch_load_b32 v29, off, off offset:352 th:TH_LOAD_LU
	v_add_f64_e64 v[8:9], v[40:41], -v[38:39]
	v_add_f64_e64 v[4:5], v[34:35], -v[32:33]
	s_wait_loadcnt 0x0
	v_mad_u16 v28, 0x77, v28, v29
	s_delay_alu instid0(VALU_DEP_1) | instskip(NEXT) | instid1(VALU_DEP_1)
	v_and_b32_e32 v28, 0xffff, v28
	v_lshlrev_b32_e32 v28, 4, v28
	ds_store_b128 v28, v[0:3]
	ds_store_b128 v28, v[24:27] offset:272
	ds_store_b128 v28, v[20:23] offset:544
	;; [unrolled: 1-line block ×6, first 2 shown]
.LBB0_9:
	s_wait_alu 0xfffe
	s_or_b32 exec_lo, exec_lo, s26
	global_wb scope:SCOPE_SE
	s_wait_dscnt 0x0
	s_barrier_signal -1
	s_barrier_wait -1
	global_inv scope:SCOPE_SE
	ds_load_b128 v[4:7], v62 offset:1904
	ds_load_b128 v[76:79], v62 offset:30464
	ds_load_b128 v[68:71], v62
	ds_load_b128 v[8:11], v62 offset:3808
	ds_load_b128 v[12:15], v62 offset:5712
	;; [unrolled: 1-line block ×14, first 2 shown]
	s_mov_b32 s26, 0x5d8e7cdc
	s_mov_b32 s14, 0x3259b75e
	s_mov_b32 s27, 0xbfd71e95
	s_mov_b32 s15, 0x3fb79ee6
	s_mov_b32 s28, 0x370991
	s_mov_b32 s22, 0x2a9d6da3
	s_wait_dscnt 0xd
	v_mul_f64_e32 v[58:59], v[110:111], v[10:11]
	s_wait_dscnt 0xc
	v_mul_f64_e32 v[60:61], v[102:103], v[14:15]
	v_mul_f64_e32 v[63:64], v[102:103], v[12:13]
	s_wait_dscnt 0xb
	v_mul_f64_e32 v[66:67], v[94:95], v[20:21]
	s_wait_dscnt 0xa
	v_mul_f64_e32 v[90:91], v[138:139], v[26:27]
	s_wait_dscnt 0x9
	v_mul_f64_e32 v[102:103], v[130:131], v[30:31]
	v_mul_f64_e32 v[130:131], v[130:131], v[28:29]
	s_wait_dscnt 0x6
	v_mul_f64_e32 v[148:149], v[134:135], v[50:51]
	v_mul_f64_e32 v[134:135], v[134:135], v[48:49]
	s_wait_dscnt 0x5
	v_mul_f64_e32 v[150:151], v[126:127], v[54:55]
	v_mul_f64_e32 v[16:17], v[142:143], v[4:5]
	;; [unrolled: 1-line block ×8, first 2 shown]
	s_wait_dscnt 0x2
	v_mul_f64_e32 v[160:161], v[158:159], v[2:3]
	v_mul_f64_e32 v[158:159], v[158:159], v[0:1]
	s_mov_b32 s24, 0x75d4884
	s_mov_b32 s18, 0x7c9e640b
	;; [unrolled: 1-line block ×19, first 2 shown]
	v_fma_f64 v[58:59], v[108:109], v[8:9], v[58:59]
	v_fma_f64 v[60:61], v[100:101], v[12:13], v[60:61]
	v_fma_f64 v[63:64], v[100:101], v[14:15], -v[63:64]
	s_mov_b32 s35, 0xbfe9895b
	v_fma_f64 v[202:203], v[136:137], v[24:25], v[90:91]
	s_mov_b32 s49, 0xbfeb34fa
	s_mov_b32 s39, 0xbfc7851a
	;; [unrolled: 1-line block ×3, first 2 shown]
	s_wait_alu 0xfffe
	s_mov_b32 s16, s12
	v_fma_f64 v[198:199], v[128:129], v[30:31], -v[130:131]
	v_fma_f64 v[56:57], v[140:141], v[6:7], -v[16:17]
	;; [unrolled: 1-line block ×3, first 2 shown]
	v_mul_f64_e32 v[16:17], v[110:111], v[8:9]
	s_wait_dscnt 0x0
	v_mul_f64_e32 v[22:23], v[146:147], v[38:39]
	v_mul_f64_e32 v[78:79], v[94:95], v[18:19]
	v_mul_f64_e32 v[94:95], v[138:139], v[24:25]
	v_mul_f64_e32 v[110:111], v[146:147], v[40:41]
	v_fma_f64 v[138:139], v[140:141], v[4:5], v[36:37]
	v_fma_f64 v[162:163], v[152:153], v[76:77], v[42:43]
	v_mul_f64_e32 v[146:147], v[114:115], v[46:47]
	v_mul_f64_e32 v[114:115], v[114:115], v[44:45]
	;; [unrolled: 1-line block ×4, first 2 shown]
	v_fma_f64 v[36:37], v[92:93], v[18:19], v[66:67]
	v_fma_f64 v[4:5], v[132:133], v[50:51], -v[134:135]
	v_fma_f64 v[90:91], v[124:125], v[54:55], -v[126:127]
	v_fma_f64 v[42:43], v[128:129], v[28:29], v[102:103]
	v_fma_f64 v[14:15], v[132:133], v[48:49], v[148:149]
	;; [unrolled: 1-line block ×3, first 2 shown]
	v_fma_f64 v[208:209], v[156:157], v[2:3], -v[158:159]
	s_mov_b32 s44, 0x6ed5f1bb
	s_mov_b32 s3, 0x3fd71e95
	;; [unrolled: 1-line block ×16, first 2 shown]
	v_add_f64_e32 v[54:55], v[70:71], v[56:57]
	scratch_store_b64 off, v[6:7], off      ; 8-byte Folded Spill
	v_add_f64_e64 v[76:77], v[56:57], -v[6:7]
	v_add_f64_e32 v[140:141], v[56:57], v[6:7]
	v_fma_f64 v[154:155], v[108:109], v[10:11], -v[16:17]
	v_fma_f64 v[6:7], v[144:145], v[40:41], -v[22:23]
	v_mul_f64_e32 v[22:23], v[98:99], v[82:83]
	v_mul_f64_e32 v[98:99], v[98:99], v[80:81]
	scratch_store_b64 off, v[162:163], off offset:16 ; 8-byte Folded Spill
	v_mul_f64_e32 v[108:109], v[118:119], v[74:75]
	v_mul_f64_e32 v[118:119], v[118:119], v[72:73]
	v_fma_f64 v[88:89], v[92:93], v[20:21], -v[78:79]
	v_fma_f64 v[200:201], v[136:137], v[26:27], -v[94:95]
	v_fma_f64 v[8:9], v[144:145], v[38:39], v[110:111]
	v_add_f64_e32 v[66:67], v[68:69], v[138:139]
	v_add_f64_e32 v[78:79], v[138:139], v[162:163]
	v_add_f64_e64 v[94:95], v[138:139], -v[162:163]
	v_fma_f64 v[38:39], v[120:121], v[32:33], v[142:143]
	v_fma_f64 v[40:41], v[120:121], v[34:35], -v[122:123]
	v_fma_f64 v[16:17], v[112:113], v[44:45], v[146:147]
	v_fma_f64 v[18:19], v[112:113], v[46:47], -v[114:115]
	;; [unrolled: 2-line block ×3, first 2 shown]
	v_fma_f64 v[84:85], v[104:105], v[84:85], v[152:153]
	v_mul_f64_e32 v[100:101], s[26:27], v[76:77]
	v_mul_f64_e32 v[50:51], s[14:15], v[140:141]
	v_mul_f64_e32 v[102:103], s[28:29], v[140:141]
	scratch_store_b64 off, v[6:7], off offset:32 ; 8-byte Folded Spill
	v_add_f64_e64 v[56:57], v[154:155], -v[6:7]
	v_mul_f64_e32 v[110:111], s[22:23], v[76:77]
	v_mul_f64_e32 v[120:121], s[24:25], v[140:141]
	;; [unrolled: 1-line block ×6, first 2 shown]
	scratch_store_b64 off, v[8:9], off offset:48 ; 8-byte Folded Spill
	v_mul_f64_e32 v[112:113], s[40:41], v[140:141]
	v_add_f64_e32 v[114:115], v[154:155], v[6:7]
	v_mul_f64_e32 v[86:87], s[34:35], v[76:77]
	v_fma_f64 v[194:195], v[96:97], v[80:81], v[22:23]
	v_fma_f64 v[204:205], v[96:97], v[82:83], -v[98:99]
	v_fma_f64 v[2:3], v[116:117], v[72:73], v[108:109]
	v_fma_f64 v[0:1], v[116:117], v[74:75], -v[118:119]
	v_mul_f64_e32 v[72:73], s[36:37], v[76:77]
	v_mul_f64_e32 v[74:75], s[48:49], v[140:141]
	v_add_f64_e32 v[96:97], v[58:59], v[8:9]
	v_add_f64_e64 v[98:99], v[58:59], -v[8:9]
	v_mul_f64_e32 v[76:77], s[38:39], v[76:77]
	v_mul_f64_e32 v[80:81], s[52:53], v[140:141]
	v_add_f64_e32 v[58:59], v[66:67], v[58:59]
	s_wait_alu 0xfffe
	v_mul_f64_e32 v[104:105], s[44:45], v[140:141]
	s_clause 0x2
	scratch_store_b64 off, v[16:17], off offset:344
	scratch_store_b64 off, v[14:15], off offset:352
	;; [unrolled: 1-line block ×3, first 2 shown]
	v_add_f64_e32 v[54:55], v[54:55], v[154:155]
	v_fma_f64 v[66:67], v[78:79], s[28:29], v[100:101]
	v_fma_f64 v[124:125], v[94:95], s[16:17], v[50:51]
	;; [unrolled: 1-line block ×4, first 2 shown]
	v_mul_f64_e32 v[128:129], s[22:23], v[56:57]
	v_fma_f64 v[100:101], v[78:79], s[28:29], -v[100:101]
	v_fma_f64 v[102:103], v[94:95], s[26:27], v[102:103]
	v_fma_f64 v[106:107], v[78:79], s[24:25], v[110:111]
	;; [unrolled: 1-line block ×3, first 2 shown]
	v_fma_f64 v[110:111], v[78:79], s[24:25], -v[110:111]
	v_fma_f64 v[116:117], v[94:95], s[22:23], v[120:121]
	v_fma_f64 v[118:119], v[78:79], s[20:21], v[44:45]
	;; [unrolled: 1-line block ×3, first 2 shown]
	v_fma_f64 v[44:45], v[78:79], s[20:21], -v[44:45]
	v_fma_f64 v[122:123], v[78:79], s[14:15], v[48:49]
	v_fma_f64 v[48:49], v[78:79], s[14:15], -v[48:49]
	v_fma_f64 v[126:127], v[78:79], s[40:41], v[52:53]
	v_fma_f64 v[130:131], v[94:95], s[42:43], v[112:113]
	v_mul_f64_e32 v[132:133], s[24:25], v[114:115]
	v_fma_f64 v[52:53], v[78:79], s[40:41], -v[52:53]
	v_fma_f64 v[112:113], v[94:95], s[30:31], v[112:113]
	v_fma_f64 v[134:135], v[78:79], s[44:45], v[86:87]
	v_fma_f64 v[86:87], v[78:79], s[44:45], -v[86:87]
	v_fma_f64 v[146:147], v[78:79], s[48:49], v[72:73]
	v_fma_f64 v[148:149], v[94:95], s[50:51], v[74:75]
	;; [unrolled: 3-line block ×3, first 2 shown]
	v_fma_f64 v[152:153], v[94:95], s[54:55], v[80:81]
	v_fma_f64 v[76:77], v[78:79], s[52:53], -v[76:77]
	v_fma_f64 v[46:47], v[94:95], s[18:19], v[46:47]
	v_fma_f64 v[136:137], v[94:95], s[46:47], v[104:105]
	;; [unrolled: 1-line block ×3, first 2 shown]
	s_clause 0x1
	scratch_store_b64 off, v[0:1], off offset:360
	scratch_store_b64 off, v[2:3], off offset:376
	v_mul_f64_e32 v[138:139], s[12:13], v[56:57]
	v_mul_f64_e32 v[140:141], s[14:15], v[114:115]
	v_mul_f64_e32 v[142:143], s[34:35], v[56:57]
	v_add_f64_e32 v[66:67], v[68:69], v[66:67]
	v_mul_f64_e32 v[160:161], s[48:49], v[114:115]
	v_add_f64_e32 v[158:159], v[70:71], v[50:51]
	v_add_f64_e32 v[78:79], v[70:71], v[82:83]
	v_fma_f64 v[50:51], v[96:97], s[24:25], v[128:129]
	v_add_f64_e32 v[82:83], v[68:69], v[100:101]
	v_add_f64_e32 v[100:101], v[70:71], v[102:103]
	;; [unrolled: 1-line block ×12, first 2 shown]
	v_fma_f64 v[44:45], v[94:95], s[38:39], v[80:81]
	v_add_f64_e32 v[94:95], v[70:71], v[130:131]
	v_add_f64_e32 v[52:53], v[68:69], v[52:53]
	;; [unrolled: 1-line block ×4, first 2 shown]
	v_fma_f64 v[112:113], v[98:99], s[8:9], v[132:133]
	v_add_f64_e32 v[86:87], v[68:69], v[86:87]
	v_add_f64_e32 v[146:147], v[68:69], v[146:147]
	;; [unrolled: 1-line block ×7, first 2 shown]
	v_add_f64_e64 v[68:69], v[63:64], -v[0:1]
	v_add_f64_e32 v[152:153], v[63:64], v[0:1]
	v_fma_f64 v[128:129], v[96:97], s[24:25], -v[128:129]
	v_mul_f64_e32 v[80:81], s[50:51], v[56:57]
	v_fma_f64 v[132:133], v[98:99], s[22:23], v[132:133]
	v_mul_f64_e32 v[168:169], s[40:41], v[114:115]
	v_mul_f64_e32 v[172:173], s[10:11], v[56:57]
	v_mul_f64_e32 v[144:145], s[44:45], v[114:115]
	v_add_f64_e32 v[154:155], v[70:71], v[46:47]
	v_mul_f64_e32 v[46:47], s[38:39], v[56:57]
	v_mul_f64_e32 v[48:49], s[52:53], v[114:115]
	v_add_f64_e32 v[136:137], v[70:71], v[136:137]
	v_add_f64_e32 v[0:1], v[50:51], v[66:67]
	scratch_store_b64 off, v[4:5], off offset:408 ; 8-byte Folded Spill
	v_add_f64_e32 v[162:163], v[70:71], v[104:105]
	v_fma_f64 v[104:105], v[96:97], s[14:15], v[138:139]
	v_mul_f64_e32 v[164:165], s[42:43], v[56:57]
	v_fma_f64 v[166:167], v[98:99], s[16:17], v[140:141]
	v_fma_f64 v[138:139], v[96:97], s[14:15], -v[138:139]
	v_fma_f64 v[140:141], v[98:99], s[12:13], v[140:141]
	v_fma_f64 v[170:171], v[96:97], s[44:45], v[142:143]
	v_mul_f64_e32 v[176:177], s[20:21], v[114:115]
	v_fma_f64 v[190:191], v[98:99], s[36:37], v[160:161]
	v_add_f64_e32 v[124:125], v[70:71], v[124:125]
	v_add_f64_e32 v[148:149], v[70:71], v[148:149]
	v_fma_f64 v[142:143], v[96:97], s[44:45], -v[142:143]
	v_add_f64_e32 v[12:13], v[70:71], v[44:45]
	v_add_f64_e32 v[186:187], v[58:59], v[60:61]
	;; [unrolled: 1-line block ×3, first 2 shown]
	v_mul_f64_e32 v[56:57], s[2:3], v[56:57]
	v_mul_f64_e32 v[192:193], s[20:21], v[152:153]
	v_fma_f64 v[184:185], v[96:97], s[48:49], v[80:81]
	v_fma_f64 v[174:175], v[98:99], s[46:47], v[144:145]
	v_fma_f64 v[144:145], v[98:99], s[34:35], v[144:145]
	v_fma_f64 v[70:71], v[96:97], s[52:53], v[46:47]
	v_fma_f64 v[58:59], v[96:97], s[52:53], -v[46:47]
	v_fma_f64 v[54:55], v[98:99], s[38:39], v[48:49]
	scratch_store_b64 off, v[0:1], off offset:424 ; 8-byte Folded Spill
	v_add_f64_e32 v[0:1], v[112:113], v[78:79]
	v_fma_f64 v[182:183], v[98:99], s[54:55], v[48:49]
	v_add_f64_e32 v[66:67], v[166:167], v[106:107]
	v_add_f64_e32 v[76:77], v[138:139], v[108:109]
	v_fma_f64 v[138:139], v[96:97], s[40:41], -v[164:165]
	v_add_f64_e32 v[78:79], v[140:141], v[110:111]
	v_fma_f64 v[140:141], v[98:99], s[42:43], v[168:169]
	v_fma_f64 v[166:167], v[96:97], s[20:21], -v[172:173]
	v_fma_f64 v[8:9], v[96:97], s[28:29], -v[56:57]
	v_add_f64_e32 v[106:107], v[144:145], v[154:155]
	v_add_f64_e32 v[108:109], v[70:71], v[122:123]
	v_mul_f64_e32 v[70:71], s[54:55], v[68:69]
	v_mul_f64_e32 v[144:145], s[42:43], v[68:69]
	v_add_f64_e32 v[112:113], v[58:59], v[156:157]
	scratch_store_b64 off, v[0:1], off offset:440 ; 8-byte Folded Spill
	v_add_f64_e32 v[0:1], v[128:129], v[82:83]
	v_fma_f64 v[128:129], v[96:97], s[48:49], -v[80:81]
	v_add_f64_e32 v[80:81], v[170:171], v[116:117]
	v_add_f64_e32 v[116:117], v[184:185], v[126:127]
	;; [unrolled: 1-line block ×4, first 2 shown]
	v_mul_f64_e32 v[58:59], s[8:9], v[68:69]
	v_mul_f64_e32 v[154:155], s[12:13], v[68:69]
	v_add_f64_e32 v[110:111], v[182:183], v[124:125]
	v_add_f64_e32 v[118:119], v[190:191], v[94:95]
	v_mul_f64_e32 v[94:95], s[52:53], v[152:153]
	v_fma_f64 v[170:171], v[96:97], s[28:29], v[56:57]
	v_mul_f64_e32 v[156:157], s[14:15], v[152:153]
	scratch_store_b64 off, v[0:1], off offset:456 ; 8-byte Folded Spill
	v_add_f64_e32 v[0:1], v[132:133], v[100:101]
	v_fma_f64 v[100:101], v[98:99], s[50:51], v[160:161]
	v_fma_f64 v[132:133], v[98:99], s[30:31], v[168:169]
	;; [unrolled: 1-line block ×4, first 2 shown]
	v_mul_f64_e32 v[172:173], s[28:29], v[114:115]
	v_add_f64_e32 v[114:115], v[54:55], v[158:159]
	v_mul_f64_e32 v[54:55], s[26:27], v[68:69]
	v_fma_f64 v[240:241], v[174:175], s[40:41], v[144:145]
	v_fma_f64 v[238:239], v[174:175], s[40:41], -v[144:145]
	v_dual_mov_b32 v144, v206 :: v_dual_mov_b32 v145, v207
	v_fma_f64 v[244:245], v[174:175], s[52:53], v[70:71]
	v_fma_f64 v[242:243], v[174:175], s[52:53], -v[70:71]
	v_fma_f64 v[236:237], v[174:175], s[24:25], v[58:59]
	v_fma_f64 v[234:235], v[174:175], s[24:25], -v[58:59]
	v_fma_f64 v[228:229], v[174:175], s[14:15], v[154:155]
	v_fma_f64 v[226:227], v[174:175], s[14:15], -v[154:155]
	scratch_store_b64 off, v[0:1], off offset:464 ; 8-byte Folded Spill
	v_add_f64_e32 v[0:1], v[104:105], v[102:103]
	v_fma_f64 v[102:103], v[96:97], s[40:41], v[164:165]
	v_fma_f64 v[164:165], v[98:99], s[18:19], v[176:177]
	v_add_f64_e64 v[176:177], v[60:61], -v[2:3]
	v_add_f64_e32 v[126:127], v[132:133], v[136:137]
	v_add_f64_e32 v[132:133], v[160:161], v[146:147]
	v_mul_f64_e32 v[146:147], s[48:49], v[152:153]
	v_mul_f64_e32 v[60:61], s[18:19], v[68:69]
	v_add_f64_e32 v[104:105], v[142:143], v[120:121]
	v_mul_f64_e32 v[142:143], s[34:35], v[68:69]
	v_mul_f64_e32 v[68:69], s[36:37], v[68:69]
	v_add_f64_e32 v[120:121], v[128:129], v[52:53]
	v_add_f64_e32 v[122:123], v[100:101], v[130:131]
	v_mul_f64_e32 v[100:101], s[40:41], v[152:153]
	v_add_f64_e32 v[128:129], v[138:139], v[86:87]
	v_mul_f64_e32 v[86:87], s[28:29], v[152:153]
	v_mul_f64_e32 v[52:53], s[44:45], v[152:153]
	v_fma_f64 v[6:7], v[98:99], s[26:27], v[172:173]
	v_fma_f64 v[10:11], v[98:99], s[2:3], v[172:173]
	v_add_f64_e32 v[130:131], v[140:141], v[162:163]
	v_add_f64_e32 v[136:137], v[166:167], v[178:179]
	;; [unrolled: 1-line block ×4, first 2 shown]
	v_fma_f64 v[232:233], v[174:175], s[28:29], v[54:55]
	v_fma_f64 v[230:231], v[174:175], s[28:29], -v[54:55]
	scratch_store_b64 off, v[0:1], off offset:472 ; 8-byte Folded Spill
	v_add_f64_e32 v[124:125], v[102:103], v[134:135]
	v_mul_f64_e32 v[102:103], s[24:25], v[152:153]
	v_fma_f64 v[24:25], v[176:177], s[38:39], v[94:95]
	v_fma_f64 v[26:27], v[176:177], s[54:55], v[94:95]
	v_add_f64_e32 v[134:135], v[164:165], v[148:149]
	v_fma_f64 v[222:223], v[176:177], s[50:51], v[146:147]
	v_fma_f64 v[220:221], v[176:177], s[36:37], v[146:147]
	v_dual_mov_b32 v146, v208 :: v_dual_mov_b32 v147, v209
	v_fma_f64 v[224:225], v[174:175], s[48:49], v[68:69]
	v_fma_f64 v[218:219], v[174:175], s[48:49], -v[68:69]
	v_fma_f64 v[254:255], v[174:175], s[44:45], v[142:143]
	v_fma_f64 v[246:247], v[174:175], s[44:45], -v[142:143]
	v_add_f64_e64 v[68:69], v[88:89], -v[146:147]
	v_add_f64_e32 v[142:143], v[36:37], v[144:145]
	v_fma_f64 v[56:57], v[174:175], s[20:21], v[60:61]
	v_fma_f64 v[250:251], v[174:175], s[20:21], -v[60:61]
	v_fma_f64 v[28:29], v[176:177], s[30:31], v[100:101]
	v_fma_f64 v[30:31], v[176:177], s[42:43], v[100:101]
	;; [unrolled: 1-line block ×10, first 2 shown]
	v_add_f64_e32 v[0:1], v[202:203], v[194:195]
	v_fma_f64 v[32:33], v[176:177], s[22:23], v[102:103]
	v_fma_f64 v[34:35], v[176:177], s[8:9], v[102:103]
	v_mul_f64_e32 v[70:71], s[12:13], v[68:69]
	v_mul_f64_e32 v[86:87], s[38:39], v[68:69]
	;; [unrolled: 1-line block ×8, first 2 shown]
	v_add_f64_e32 v[60:61], v[60:61], v[126:127]
	v_add_f64_e32 v[58:59], v[58:59], v[130:131]
	;; [unrolled: 1-line block ×4, first 2 shown]
	v_fma_f64 v[184:185], v[142:143], s[14:15], v[70:71]
	v_fma_f64 v[182:183], v[142:143], s[14:15], -v[70:71]
	v_add_f64_e32 v[70:71], v[88:89], v[146:147]
	v_fma_f64 v[180:181], v[142:143], s[52:53], v[86:87]
	v_fma_f64 v[178:179], v[142:143], s[52:53], -v[86:87]
	v_fma_f64 v[176:177], v[142:143], s[40:41], v[94:95]
	v_fma_f64 v[174:175], v[142:143], s[40:41], -v[94:95]
	;; [unrolled: 2-line block ×7, first 2 shown]
	v_add_f64_e32 v[68:69], v[188:189], v[88:89]
	v_add_f64_e32 v[86:87], v[186:187], v[36:37]
	v_add_f64_e64 v[36:37], v[36:37], -v[144:145]
	v_mul_f64_e32 v[88:89], s[14:15], v[70:71]
	v_mul_f64_e32 v[94:95], s[52:53], v[70:71]
	;; [unrolled: 1-line block ×8, first 2 shown]
	v_add_f64_e32 v[68:69], v[68:69], v[200:201]
	v_fma_f64 v[216:217], v[36:37], s[16:17], v[88:89]
	v_fma_f64 v[214:215], v[36:37], s[12:13], v[88:89]
	;; [unrolled: 1-line block ×16, first 2 shown]
	v_add_f64_e32 v[36:37], v[86:87], v[202:203]
	v_add_f64_e32 v[68:69], v[68:69], v[198:199]
	;; [unrolled: 1-line block ×7, first 2 shown]
	s_delay_alu instid0(VALU_DEP_2) | instskip(NEXT) | instid1(VALU_DEP_2)
	v_add_f64_e32 v[36:37], v[36:37], v[38:39]
	v_add_f64_e32 v[68:69], v[68:69], v[18:19]
	scratch_load_b64 v[18:19], off, off offset:472 th:TH_LOAD_LU ; 8-byte Folded Reload
	v_add_f64_e32 v[36:37], v[36:37], v[16:17]
	v_add_f64_e32 v[88:89], v[68:69], v[4:5]
	;; [unrolled: 1-line block ×3, first 2 shown]
	s_delay_alu instid0(VALU_DEP_3) | instskip(SKIP_3) | instid1(VALU_DEP_4)
	v_add_f64_e32 v[70:71], v[36:37], v[14:15]
	v_add_f64_e32 v[36:37], v[38:39], v[92:93]
	v_add_f64_e64 v[38:39], v[38:39], -v[92:93]
	v_add_f64_e32 v[16:17], v[88:89], v[90:91]
	v_add_f64_e32 v[86:87], v[70:71], v[92:93]
	v_add_f64_e64 v[70:71], v[40:41], -v[90:91]
	v_add_f64_e32 v[40:41], v[42:43], v[84:85]
	v_add_f64_e64 v[42:43], v[42:43], -v[84:85]
	v_add_f64_e32 v[16:17], v[16:17], v[196:197]
	v_add_f64_e32 v[14:15], v[86:87], v[84:85]
	v_add_f64_e64 v[84:85], v[200:201], -v[204:205]
	s_delay_alu instid0(VALU_DEP_3) | instskip(NEXT) | instid1(VALU_DEP_3)
	v_add_f64_e32 v[16:17], v[16:17], v[204:205]
	v_add_f64_e32 v[14:15], v[14:15], v[194:195]
	s_delay_alu instid0(VALU_DEP_3)
	v_mul_f64_e32 v[86:87], s[30:31], v[84:85]
	v_mul_f64_e32 v[88:89], s[50:51], v[84:85]
	;; [unrolled: 1-line block ×8, first 2 shown]
	v_add_f64_e32 v[16:17], v[16:17], v[146:147]
	v_add_f64_e32 v[14:15], v[14:15], v[144:145]
	v_fma_f64 v[166:167], v[0:1], s[40:41], v[86:87]
	v_fma_f64 v[152:153], v[0:1], s[40:41], -v[86:87]
	v_fma_f64 v[150:151], v[0:1], s[48:49], v[88:89]
	v_fma_f64 v[86:87], v[0:1], s[48:49], -v[88:89]
	;; [unrolled: 2-line block ×6, first 2 shown]
	v_fma_f64 v[2:3], v[0:1], s[28:29], v[4:5]
	v_mul_f64_e32 v[144:145], s[36:37], v[70:71]
	scratch_store_b64 off, v[2:3], off offset:496 ; 8-byte Folded Spill
	v_fma_f64 v[2:3], v[0:1], s[28:29], -v[4:5]
	v_add_f64_e32 v[4:5], v[10:11], v[12:13]
	s_clause 0x1
	scratch_load_b64 v[12:13], off, off offset:464 th:TH_LOAD_LU
	scratch_load_b64 v[10:11], off, off offset:456 th:TH_LOAD_LU
	scratch_store_b64 off, v[2:3], off offset:488 ; 8-byte Folded Spill
	v_fma_f64 v[2:3], v[0:1], s[44:45], v[84:85]
	v_fma_f64 v[84:85], v[0:1], s[44:45], -v[84:85]
	v_add_f64_e32 v[0:1], v[6:7], v[72:73]
	scratch_load_b64 v[6:7], off, off offset:424 th:TH_LOAD_LU ; 8-byte Folded Reload
	v_add_f64_e32 v[4:5], v[220:221], v[4:5]
	v_add_f64_e32 v[72:73], v[244:245], v[80:81]
	;; [unrolled: 1-line block ×3, first 2 shown]
	v_add_f64_e64 v[116:117], v[198:199], -v[196:197]
	scratch_store_b64 off, v[2:3], off offset:480 ; 8-byte Folded Spill
	v_add_f64_e32 v[2:3], v[8:9], v[74:75]
	scratch_load_b64 v[8:9], off, off offset:440 th:TH_LOAD_LU ; 8-byte Folded Reload
	v_add_f64_e32 v[74:75], v[242:243], v[104:105]
	v_add_f64_e32 v[104:105], v[232:233], v[124:125]
	;; [unrolled: 1-line block ×4, first 2 shown]
	v_mul_f64_e32 v[146:147], s[38:39], v[116:117]
	v_add_f64_e32 v[72:73], v[176:177], v[72:73]
	v_add_f64_e32 v[2:3], v[218:219], v[2:3]
	;; [unrolled: 1-line block ×4, first 2 shown]
	s_delay_alu instid0(VALU_DEP_4) | instskip(NEXT) | instid1(VALU_DEP_4)
	v_add_f64_e32 v[72:73], v[88:89], v[72:73]
	v_add_f64_e32 v[2:3], v[148:149], v[2:3]
	v_mul_f64_e32 v[148:149], s[36:37], v[116:117]
	v_add_f64_e32 v[74:75], v[142:143], v[74:75]
	s_delay_alu instid0(VALU_DEP_3) | instskip(SKIP_2) | instid1(VALU_DEP_1)
	v_add_f64_e32 v[2:3], v[84:85], v[2:3]
	s_wait_loadcnt 0x3
	v_add_f64_e32 v[12:13], v[252:253], v[12:13]
	v_add_f64_e32 v[12:13], v[214:215], v[12:13]
	s_wait_loadcnt 0x1
	v_add_f64_e32 v[6:7], v[56:57], v[6:7]
	v_add_f64_e32 v[56:57], v[254:255], v[18:19]
	v_add_f64_e32 v[18:19], v[20:21], v[66:67]
	v_add_f64_e32 v[66:67], v[246:247], v[76:77]
	v_add_f64_e32 v[20:21], v[22:23], v[78:79]
	v_add_f64_e32 v[22:23], v[24:25], v[82:83]
	v_add_f64_e32 v[24:25], v[26:27], v[106:107]
	v_add_f64_e32 v[26:27], v[28:29], v[110:111]
	v_add_f64_e32 v[28:29], v[30:31], v[114:115]
	v_add_f64_e32 v[30:31], v[32:33], v[118:119]
	v_add_f64_e32 v[32:33], v[34:35], v[122:123]
	v_add_f64_e32 v[34:35], v[200:201], v[204:205]
	v_add_f64_e32 v[76:77], v[240:241], v[108:109]
	v_add_f64_e32 v[82:83], v[234:235], v[120:121]
	v_add_f64_e32 v[106:107], v[230:231], v[128:129]
	v_add_f64_e32 v[108:109], v[228:229], v[132:133]
	v_add_f64_e64 v[118:119], v[202:203], -v[194:195]
	v_add_f64_e32 v[78:79], v[238:239], v[112:113]
	v_add_f64_e32 v[110:111], v[226:227], v[136:137]
	;; [unrolled: 1-line block ×15, first 2 shown]
	v_mul_f64_e32 v[120:121], s[40:41], v[34:35]
	v_mul_f64_e32 v[122:123], s[48:49], v[34:35]
	;; [unrolled: 1-line block ×8, first 2 shown]
	v_add_f64_e32 v[50:51], v[63:64], v[60:61]
	v_add_f64_e32 v[63:64], v[158:159], v[108:109]
	;; [unrolled: 1-line block ×5, first 2 shown]
	v_mul_f64_e32 v[108:109], s[42:43], v[116:117]
	v_add_f64_e32 v[60:61], v[160:161], v[106:107]
	v_mul_f64_e32 v[106:107], s[44:45], v[114:115]
	v_mul_f64_e32 v[110:111], s[40:41], v[114:115]
	v_add_f64_e32 v[46:47], v[164:165], v[82:83]
	v_add_f64_e32 v[82:83], v[154:155], v[112:113]
	v_mul_f64_e32 v[112:113], s[26:27], v[116:117]
	v_add_f64_e32 v[30:31], v[48:49], v[30:31]
	v_add_f64_e32 v[48:49], v[162:163], v[104:105]
	;; [unrolled: 3-line block ×3, first 2 shown]
	v_mul_f64_e32 v[150:151], s[22:23], v[116:117]
	v_add_f64_e32 v[66:67], v[86:87], v[66:67]
	scratch_load_b64 v[86:87], off, off offset:376 th:TH_LOAD_LU ; 8-byte Folded Reload
	v_add_f64_e32 v[10:11], v[250:251], v[10:11]
	v_add_f64_e32 v[44:45], v[98:99], v[44:45]
	v_fma_f64 v[134:135], v[118:119], s[42:43], v[120:121]
	v_fma_f64 v[120:121], v[118:119], s[30:31], v[120:121]
	;; [unrolled: 1-line block ×16, first 2 shown]
	v_mul_f64_e32 v[118:119], s[28:29], v[114:115]
	v_fma_f64 v[156:157], v[40:41], s[40:41], v[108:109]
	v_fma_f64 v[108:109], v[40:41], s[40:41], -v[108:109]
	v_add_f64_e32 v[76:77], v[102:103], v[76:77]
	v_add_f64_e32 v[78:79], v[100:101], v[78:79]
	v_fma_f64 v[100:101], v[40:41], s[48:49], v[148:149]
	v_fma_f64 v[102:103], v[40:41], s[28:29], v[112:113]
	;; [unrolled: 1-line block ×4, first 2 shown]
	v_fma_f64 v[104:105], v[40:41], s[44:45], -v[104:105]
	v_fma_f64 v[106:107], v[42:43], s[34:35], v[106:107]
	v_fma_f64 v[112:113], v[40:41], s[28:29], -v[112:113]
	v_add_f64_e32 v[46:47], v[90:91], v[46:47]
	v_add_f64_e32 v[48:49], v[94:95], v[48:49]
	v_add_f64_e32 v[60:61], v[92:93], v[60:61]
	v_mul_f64_e32 v[90:91], s[12:13], v[70:71]
	v_add_f64_e32 v[10:11], v[182:183], v[10:11]
	v_fma_f64 v[94:95], v[40:41], s[24:25], v[150:151]
	v_fma_f64 v[148:149], v[40:41], s[48:49], -v[148:149]
	v_mul_f64_e32 v[92:93], s[14:15], v[68:69]
	v_add_f64_e32 v[12:13], v[120:121], v[12:13]
	v_mul_f64_e32 v[120:121], s[14:15], v[114:115]
	v_add_f64_e32 v[18:19], v[136:137], v[18:19]
	;; [unrolled: 2-line block ×4, first 2 shown]
	v_add_f64_e32 v[4:5], v[34:35], v[4:5]
	scratch_load_b64 v[34:35], off, off offset:48 th:TH_LOAD_LU ; 8-byte Folded Reload
	v_add_f64_e32 v[26:27], v[140:141], v[26:27]
	v_add_f64_e32 v[0:1], v[202:203], v[0:1]
	;; [unrolled: 1-line block ×3, first 2 shown]
	v_mul_f64_e32 v[138:139], s[48:49], v[68:69]
	v_add_f64_e32 v[54:55], v[200:201], v[54:55]
	v_fma_f64 v[124:125], v[42:43], s[30:31], v[110:111]
	v_fma_f64 v[140:141], v[42:43], s[2:3], v[118:119]
	;; [unrolled: 1-line block ×3, first 2 shown]
	v_add_f64_e32 v[66:67], v[108:109], v[66:67]
	v_fma_f64 v[110:111], v[42:43], s[42:43], v[110:111]
	v_add_f64_e32 v[28:29], v[126:127], v[28:29]
	v_add_f64_e32 v[76:77], v[100:101], v[76:77]
	v_fma_f64 v[100:101], v[40:41], s[52:53], -v[146:147]
	v_add_f64_e32 v[72:73], v[102:103], v[72:73]
	v_fma_f64 v[102:103], v[40:41], s[24:25], -v[150:151]
	v_add_f64_e32 v[32:33], v[128:129], v[32:33]
	v_add_f64_e32 v[58:59], v[130:131], v[58:59]
	;; [unrolled: 1-line block ×5, first 2 shown]
	v_mul_f64_e32 v[130:131], s[26:27], v[70:71]
	v_add_f64_e32 v[50:51], v[198:199], v[50:51]
	v_add_f64_e32 v[10:11], v[152:153], v[10:11]
	v_mul_f64_e32 v[152:153], s[16:17], v[116:117]
	v_mul_f64_e32 v[116:117], s[10:11], v[116:117]
	v_add_f64_e32 v[48:49], v[94:95], v[48:49]
	v_mul_f64_e32 v[94:95], s[38:39], v[70:71]
	v_add_f64_e32 v[30:31], v[194:195], v[30:31]
	;; [unrolled: 2-line block ×3, first 2 shown]
	v_fma_f64 v[158:159], v[42:43], s[12:13], v[120:121]
	v_fma_f64 v[88:89], v[42:43], s[16:17], v[120:121]
	;; [unrolled: 1-line block ×5, first 2 shown]
	v_fma_f64 v[120:121], v[36:37], s[48:49], -v[144:145]
	v_add_f64_e32 v[78:79], v[148:149], v[78:79]
	v_add_f64_e32 v[56:57], v[156:157], v[56:57]
	;; [unrolled: 1-line block ×3, first 2 shown]
	v_mul_f64_e32 v[124:125], s[44:45], v[68:69]
	v_add_f64_e32 v[24:25], v[118:119], v[24:25]
	v_add_f64_e32 v[22:23], v[140:141], v[22:23]
	;; [unrolled: 1-line block ×3, first 2 shown]
	v_fma_f64 v[110:111], v[42:43], s[38:39], v[122:123]
	v_fma_f64 v[122:123], v[38:39], s[36:37], v[138:139]
	v_add_f64_e32 v[60:61], v[102:103], v[60:61]
	v_mul_f64_e32 v[102:103], s[8:9], v[70:71]
	v_add_f64_e32 v[10:11], v[104:105], v[10:11]
	v_fma_f64 v[98:99], v[40:41], s[14:15], v[152:153]
	v_fma_f64 v[104:105], v[42:43], s[22:23], v[136:137]
	;; [unrolled: 1-line block ×3, first 2 shown]
	v_add_f64_e32 v[30:31], v[158:159], v[30:31]
	v_add_f64_e32 v[32:33], v[88:89], v[32:33]
	v_fma_f64 v[88:89], v[38:39], s[16:17], v[92:93]
	v_add_f64_e32 v[50:51], v[96:97], v[50:51]
	v_add_f64_e32 v[54:55], v[108:109], v[54:55]
	v_mul_f64_e32 v[96:97], s[52:53], v[68:69]
	v_add_f64_e32 v[52:53], v[110:111], v[52:53]
	v_add_f64_e32 v[110:111], v[120:121], v[10:11]
	;; [unrolled: 1-line block ×3, first 2 shown]
	v_fma_f64 v[98:99], v[36:37], s[48:49], v[144:145]
	v_add_f64_e32 v[58:59], v[104:105], v[58:59]
	v_mul_f64_e32 v[104:105], s[24:25], v[68:69]
	v_fma_f64 v[10:11], v[38:39], s[34:35], v[124:125]
	s_delay_alu instid0(VALU_DEP_4) | instskip(SKIP_4) | instid1(VALU_DEP_1)
	v_add_f64_e32 v[6:7], v[98:99], v[6:7]
	s_wait_loadcnt 0x1
	v_add_f64_e32 v[14:15], v[14:15], v[86:87]
	scratch_load_b64 v[86:87], off, off offset:360 th:TH_LOAD_LU ; 8-byte Folded Reload
	v_add_f64_e32 v[8:9], v[248:249], v[8:9]
	v_add_f64_e32 v[8:9], v[216:217], v[8:9]
	s_wait_loadcnt 0x1
	v_add_f64_e32 v[34:35], v[14:15], v[34:35]
	scratch_load_b64 v[14:15], off, off offset:32 th:TH_LOAD_LU ; 8-byte Folded Reload
	v_add_f64_e32 v[8:9], v[134:135], v[8:9]
	v_mul_f64_e32 v[134:135], s[48:49], v[114:115]
	v_mul_f64_e32 v[114:115], s[20:21], v[114:115]
	s_delay_alu instid0(VALU_DEP_3) | instskip(NEXT) | instid1(VALU_DEP_3)
	v_add_f64_e32 v[8:9], v[154:155], v[8:9]
	v_fma_f64 v[126:127], v[42:43], s[50:51], v[134:135]
	s_delay_alu instid0(VALU_DEP_3) | instskip(SKIP_4) | instid1(VALU_DEP_4)
	v_fma_f64 v[118:119], v[42:43], s[18:19], v[114:115]
	v_fma_f64 v[134:135], v[42:43], s[36:37], v[134:135]
	;; [unrolled: 1-line block ×4, first 2 shown]
	v_add_f64_e32 v[26:27], v[126:127], v[26:27]
	v_add_f64_e32 v[28:29], v[134:135], v[28:29]
	s_delay_alu instid0(VALU_DEP_4)
	v_add_f64_e32 v[4:5], v[42:43], v[4:5]
	v_fma_f64 v[42:43], v[38:39], s[12:13], v[92:93]
	v_add_f64_e32 v[92:93], v[114:115], v[8:9]
	v_add_f64_e32 v[114:115], v[88:89], v[22:23]
	v_fma_f64 v[22:23], v[38:39], s[26:27], v[132:133]
	v_fma_f64 v[88:89], v[38:39], s[54:55], v[96:97]
	;; [unrolled: 1-line block ×3, first 2 shown]
	v_add_f64_e32 v[134:135], v[10:11], v[26:27]
	s_delay_alu instid0(VALU_DEP_3)
	v_add_f64_e32 v[148:149], v[88:89], v[50:51]
	s_wait_loadcnt 0x1
	v_add_f64_e32 v[16:17], v[16:17], v[86:87]
	scratch_load_b64 v[86:87], off, off offset:496 th:TH_LOAD_LU ; 8-byte Folded Reload
	s_wait_loadcnt 0x1
	v_add_f64_e32 v[84:85], v[16:17], v[14:15]
	v_mul_f64_e32 v[16:17], s[20:21], v[68:69]
	v_mul_f64_e32 v[14:15], s[10:11], v[70:71]
	;; [unrolled: 1-line block ×3, first 2 shown]
	s_delay_alu instid0(VALU_DEP_3) | instskip(SKIP_1) | instid1(VALU_DEP_4)
	v_fma_f64 v[128:129], v[38:39], s[18:19], v[16:17]
	v_fma_f64 v[16:17], v[38:39], s[10:11], v[16:17]
	;; [unrolled: 1-line block ×3, first 2 shown]
	v_fma_f64 v[14:15], v[36:37], s[20:21], -v[14:15]
	s_delay_alu instid0(VALU_DEP_2) | instskip(NEXT) | instid1(VALU_DEP_2)
	v_add_f64_e32 v[56:57], v[126:127], v[56:57]
	v_add_f64_e32 v[66:67], v[14:15], v[66:67]
	v_fma_f64 v[14:15], v[38:39], s[46:47], v[124:125]
	s_delay_alu instid0(VALU_DEP_1)
	v_add_f64_e32 v[10:11], v[14:15], v[28:29]
	v_add_f64_e32 v[14:15], v[96:97], v[58:59]
	s_wait_loadcnt 0x0
	v_add_f64_e32 v[63:64], v[86:87], v[63:64]
	scratch_load_b64 v[86:87], off, off offset:488 th:TH_LOAD_LU ; 8-byte Folded Reload
	v_add_f64_e32 v[63:64], v[106:107], v[63:64]
	s_wait_loadcnt 0x0
	v_add_f64_e32 v[80:81], v[86:87], v[80:81]
	scratch_load_b64 v[86:87], off, off offset:480 th:TH_LOAD_LU ; 8-byte Folded Reload
	v_add_f64_e32 v[80:81], v[100:101], v[80:81]
	v_add_f64_e32 v[100:101], v[118:119], v[0:1]
	s_clause 0x1
	scratch_load_b64 v[0:1], off, off offset:392 th:TH_LOAD_LU
	scratch_load_b64 v[108:109], off, off offset:408 th:TH_LOAD_LU
	v_fma_f64 v[118:119], v[38:39], s[22:23], v[104:105]
	v_fma_f64 v[104:105], v[38:39], s[8:9], v[104:105]
	s_wait_loadcnt 0x2
	v_add_f64_e32 v[82:83], v[86:87], v[82:83]
	v_fma_f64 v[86:87], v[40:41], s[14:15], -v[152:153]
	v_fma_f64 v[40:41], v[40:41], s[20:21], -v[116:117]
	v_mul_f64_e32 v[116:117], s[46:47], v[70:71]
	v_mul_f64_e32 v[70:71], s[30:31], v[70:71]
	v_add_f64_e32 v[82:83], v[112:113], v[82:83]
	v_add_f64_e32 v[46:47], v[86:87], v[46:47]
	v_fma_f64 v[86:87], v[36:37], s[14:15], v[90:91]
	s_wait_loadcnt 0x0
	v_add_f64_e64 v[106:107], v[0:1], -v[108:109]
	v_add_f64_e32 v[108:109], v[0:1], v[108:109]
	v_fma_f64 v[90:91], v[36:37], s[14:15], -v[90:91]
	v_add_f64_e32 v[40:41], v[40:41], v[2:3]
	v_fma_f64 v[98:99], v[36:37], s[44:45], v[116:117]
	v_add_f64_e32 v[0:1], v[122:123], v[12:13]
	v_fma_f64 v[12:13], v[36:37], s[44:45], -v[116:117]
	v_add_f64_e32 v[2:3], v[16:17], v[20:21]
	v_fma_f64 v[16:17], v[36:37], s[28:29], v[130:131]
	v_fma_f64 v[20:21], v[36:37], s[28:29], -v[130:131]
	v_fma_f64 v[116:117], v[36:37], s[24:25], v[102:103]
	v_fma_f64 v[102:103], v[36:37], s[24:25], -v[102:103]
	v_fma_f64 v[120:121], v[36:37], s[40:41], v[70:71]
	v_add_f64_e32 v[112:113], v[128:129], v[18:19]
	v_fma_f64 v[18:19], v[38:39], s[2:3], v[132:133]
	v_fma_f64 v[122:123], v[38:39], s[42:43], v[68:69]
	;; [unrolled: 1-line block ×3, first 2 shown]
	v_add_f64_e32 v[86:87], v[86:87], v[72:73]
	v_fma_f64 v[72:73], v[36:37], s[52:53], v[94:95]
	v_fma_f64 v[94:95], v[36:37], s[52:53], -v[94:95]
	v_fma_f64 v[36:37], v[36:37], s[40:41], -v[70:71]
	s_clause 0x1
	scratch_load_b64 v[8:9], off, off offset:344 th:TH_LOAD_LU
	scratch_load_b64 v[70:71], off, off offset:352 th:TH_LOAD_LU
	v_mul_f64_e32 v[124:125], s[38:39], v[106:107]
	v_add_f64_e32 v[128:129], v[90:91], v[74:75]
	v_mul_f64_e32 v[74:75], s[2:3], v[106:107]
	v_add_f64_e32 v[98:99], v[98:99], v[76:77]
	v_mul_f64_e32 v[76:77], s[8:9], v[106:107]
	v_mul_f64_e32 v[26:27], s[34:35], v[106:107]
	;; [unrolled: 1-line block ×4, first 2 shown]
	v_add_f64_e32 v[78:79], v[12:13], v[78:79]
	v_add_f64_e32 v[44:45], v[16:17], v[44:45]
	;; [unrolled: 1-line block ×9, first 2 shown]
	v_mul_f64_e32 v[126:127], s[52:53], v[108:109]
	v_mul_f64_e32 v[90:91], s[28:29], v[108:109]
	;; [unrolled: 1-line block ×8, first 2 shown]
	v_add_f64_e32 v[46:47], v[20:21], v[46:47]
	v_add_f64_e32 v[48:49], v[72:73], v[48:49]
	;; [unrolled: 1-line block ×5, first 2 shown]
	s_wait_loadcnt 0x0
	v_add_f64_e32 v[68:69], v[8:9], v[70:71]
	v_add_f64_e64 v[70:71], v[8:9], -v[70:71]
	v_add_f64_e32 v[8:9], v[42:43], v[24:25]
	v_mul_f64_e32 v[42:43], s[36:37], v[106:107]
	v_mul_f64_e32 v[106:107], s[16:17], v[106:107]
	v_add_f64_e32 v[24:25], v[38:39], v[4:5]
	v_fma_f64 v[4:5], v[68:69], s[52:53], v[124:125]
	v_fma_f64 v[38:39], v[68:69], s[52:53], -v[124:125]
	v_fma_f64 v[40:41], v[68:69], s[28:29], v[74:75]
	v_fma_f64 v[52:53], v[68:69], s[28:29], -v[74:75]
	;; [unrolled: 2-line block ×8, first 2 shown]
	scratch_load_b64 v[68:69], off, off offset:16 th:TH_LOAD_LU ; 8-byte Folded Reload
	v_fma_f64 v[36:37], v[70:71], s[54:55], v[126:127]
	v_fma_f64 v[50:51], v[70:71], s[26:27], v[90:91]
	;; [unrolled: 1-line block ×16, first 2 shown]
	s_mov_b32 s2, 0x2e50bc4c
	s_mov_b32 s3, 0x3f40329e
	v_add_f64_e32 v[80:81], v[4:5], v[6:7]
	v_add_f64_e32 v[88:89], v[40:41], v[56:57]
	;; [unrolled: 1-line block ×24, first 2 shown]
	s_wait_loadcnt 0x0
	v_add_f64_e32 v[72:73], v[34:35], v[68:69]
	scratch_load_b64 v[34:35], off, off th:TH_LOAD_LU ; 8-byte Folded Reload
	v_add_f64_e32 v[68:69], v[38:39], v[110:111]
	v_add_f64_e32 v[38:39], v[104:105], v[78:79]
	;; [unrolled: 1-line block ×3, first 2 shown]
	s_wait_loadcnt 0x0
	v_add_f64_e32 v[74:75], v[84:85], v[34:35]
	v_add_f64_e32 v[34:35], v[100:101], v[98:99]
	;; [unrolled: 1-line block ×6, first 2 shown]
	ds_store_b128 v62, v[72:75]
	ds_store_b128 v62, v[80:83] offset:1904
	ds_store_b128 v62, v[88:91] offset:3808
	;; [unrolled: 1-line block ×16, first 2 shown]
	global_wb scope:SCOPE_SE
	s_wait_storecnt_dscnt 0x0
	s_barrier_signal -1
	s_barrier_wait -1
	global_inv scope:SCOPE_SE
	ds_load_b128 v[0:3], v62
	ds_load_b128 v[4:7], v62 offset:1904
	s_clause 0x2
	scratch_load_b128 v[22:25], off, off offset:248 th:TH_LOAD_LU
	scratch_load_b128 v[51:54], off, off offset:184 th:TH_LOAD_LU
	;; [unrolled: 1-line block ×3, first 2 shown]
	ds_load_b128 v[8:11], v62 offset:3808
	v_mad_co_u64_u32 v[38:39], null, s4, v65, 0
	s_wait_loadcnt_dscnt 0x202
	v_mul_f64_e32 v[12:13], v[24:25], v[2:3]
	v_mul_f64_e32 v[14:15], v[24:25], v[0:1]
	s_wait_loadcnt_dscnt 0x1
	v_mul_f64_e32 v[16:17], v[28:29], v[6:7]
	v_mul_f64_e32 v[18:19], v[28:29], v[4:5]
	s_delay_alu instid0(VALU_DEP_4) | instskip(NEXT) | instid1(VALU_DEP_4)
	v_fma_f64 v[20:21], v[22:23], v[0:1], v[12:13]
	v_fma_f64 v[22:23], v[22:23], v[2:3], -v[14:15]
	ds_load_b128 v[0:3], v62 offset:5712
	v_fma_f64 v[24:25], v[26:27], v[4:5], v[16:17]
	v_fma_f64 v[26:27], v[26:27], v[6:7], -v[18:19]
	s_wait_dscnt 0x1
	v_mul_f64_e32 v[28:29], v[53:54], v[10:11]
	v_mul_f64_e32 v[30:31], v[53:54], v[8:9]
	ds_load_b128 v[4:7], v62 offset:7616
	ds_load_b128 v[12:15], v62 offset:9520
	s_clause 0x2
	scratch_load_b128 v[53:56], off, off offset:232 th:TH_LOAD_LU
	scratch_load_b128 v[66:69], off, off offset:280 th:TH_LOAD_LU
	scratch_load_b64 v[16:17], off, off offset:128 th:TH_LOAD_LU
	s_wait_alu 0xfffe
	v_mul_f64_e32 v[18:19], s[2:3], v[22:23]
	v_mul_f64_e32 v[22:23], s[2:3], v[26:27]
	v_fma_f64 v[26:27], v[51:52], v[10:11], -v[30:31]
	s_wait_loadcnt_dscnt 0x202
	v_mul_f64_e32 v[34:35], v[55:56], v[2:3]
	v_mul_f64_e32 v[36:37], v[55:56], v[0:1]
	scratch_load_b128 v[56:59], off, off offset:216 th:TH_LOAD_LU ; 16-byte Folded Reload
	s_wait_loadcnt 0x1
	v_mov_b32_e32 v17, v16
	s_wait_dscnt 0x0
	v_mul_f64_e32 v[44:45], v[68:69], v[14:15]
	v_mul_f64_e32 v[46:47], v[68:69], v[12:13]
	s_delay_alu instid0(VALU_DEP_3) | instskip(NEXT) | instid1(VALU_DEP_1)
	v_mad_co_u64_u32 v[32:33], null, s6, v17, 0
	v_dual_mov_b32 v16, v33 :: v_dual_mov_b32 v33, v39
	s_delay_alu instid0(VALU_DEP_1)
	v_mad_co_u64_u32 v[48:49], null, s7, v17, v[16:17]
	v_mul_f64_e32 v[16:17], s[2:3], v[20:21]
	v_mul_f64_e32 v[20:21], s[2:3], v[24:25]
	v_fma_f64 v[24:25], v[51:52], v[8:9], v[28:29]
	v_mad_co_u64_u32 v[49:50], null, s5, v65, v[33:34]
	v_mov_b32_e32 v33, v48
	v_fma_f64 v[60:61], v[66:67], v[14:15], -v[46:47]
	v_mul_f64_e32 v[14:15], s[2:3], v[26:27]
	s_delay_alu instid0(VALU_DEP_3)
	v_lshlrev_b64_e32 v[8:9], 4, v[32:33]
	v_mov_b32_e32 v39, v49
	v_fma_f64 v[48:49], v[53:54], v[0:1], v[34:35]
	v_fma_f64 v[52:53], v[53:54], v[2:3], -v[36:37]
	ds_load_b128 v[0:3], v62 offset:11424
	v_lshlrev_b64_e32 v[10:11], 4, v[38:39]
	v_add_co_u32 v8, vcc_lo, s0, v8
	s_wait_alu 0xfffd
	v_add_co_ci_u32_e32 v9, vcc_lo, s1, v9, vcc_lo
	s_mul_u64 s[0:1], s[4:5], 0x770
	s_delay_alu instid0(VALU_DEP_2) | instskip(SKIP_1) | instid1(VALU_DEP_2)
	v_add_co_u32 v28, vcc_lo, v8, v10
	s_wait_alu 0xfffd
	v_add_co_ci_u32_e32 v29, vcc_lo, v9, v11, vcc_lo
	ds_load_b128 v[8:11], v62 offset:13328
	s_wait_alu 0xfffe
	v_add_co_u32 v32, vcc_lo, v28, s0
	s_wait_alu 0xfffd
	v_add_co_ci_u32_e32 v33, vcc_lo, s1, v29, vcc_lo
	s_delay_alu instid0(VALU_DEP_2) | instskip(SKIP_1) | instid1(VALU_DEP_2)
	v_add_co_u32 v71, vcc_lo, v32, s0
	s_wait_alu 0xfffd
	v_add_co_ci_u32_e32 v72, vcc_lo, s1, v33, vcc_lo
	v_mul_f64_e32 v[46:47], s[2:3], v[52:53]
	s_wait_loadcnt 0x0
	v_mul_f64_e32 v[40:41], v[58:59], v[6:7]
	v_mul_f64_e32 v[42:43], v[58:59], v[4:5]
	v_fma_f64 v[58:59], v[66:67], v[12:13], v[44:45]
	v_mul_f64_e32 v[12:13], s[2:3], v[24:25]
	v_mul_f64_e32 v[44:45], s[2:3], v[48:49]
	v_fma_f64 v[54:55], v[56:57], v[4:5], v[40:41]
	v_fma_f64 v[56:57], v[56:57], v[6:7], -v[42:43]
	ds_load_b128 v[4:7], v62 offset:15232
	s_clause 0x1
	global_store_b128 v[28:29], v[16:19], off
	global_store_b128 v[32:33], v[20:23], off
	scratch_load_b128 v[107:110], off, off offset:64 th:TH_LOAD_LU ; 16-byte Folded Reload
	ds_load_b128 v[16:19], v62 offset:17136
	ds_load_b128 v[20:23], v62 offset:19040
	v_mul_f64_e32 v[52:53], s[2:3], v[54:55]
	v_mul_f64_e32 v[54:55], s[2:3], v[56:57]
	v_mul_f64_e32 v[56:57], s[2:3], v[58:59]
	v_mul_f64_e32 v[58:59], s[2:3], v[60:61]
	s_wait_loadcnt_dscnt 0x4
	v_mul_f64_e32 v[63:64], v[109:110], v[2:3]
	v_mul_f64_e32 v[65:66], v[109:110], v[0:1]
	scratch_load_b128 v[109:112], off, off offset:80 th:TH_LOAD_LU ; 16-byte Folded Reload
	ds_load_b128 v[24:27], v62 offset:20944
	ds_load_b128 v[28:31], v62 offset:22848
	;; [unrolled: 1-line block ×6, first 2 shown]
	v_add_co_u32 v62, vcc_lo, v71, s0
	v_fma_f64 v[0:1], v[107:108], v[0:1], v[63:64]
	v_fma_f64 v[2:3], v[107:108], v[2:3], -v[65:66]
	s_wait_alu 0xfffd
	v_add_co_ci_u32_e32 v63, vcc_lo, s1, v72, vcc_lo
	v_add_co_u32 v64, vcc_lo, v62, s0
	s_wait_alu 0xfffd
	s_delay_alu instid0(VALU_DEP_2)
	v_add_co_ci_u32_e32 v65, vcc_lo, s1, v63, vcc_lo
	v_mul_f64_e32 v[0:1], s[2:3], v[0:1]
	v_mul_f64_e32 v[2:3], s[2:3], v[2:3]
	s_wait_loadcnt_dscnt 0x9
	v_mul_f64_e32 v[67:68], v[111:112], v[10:11]
	v_mul_f64_e32 v[69:70], v[111:112], v[8:9]
	scratch_load_b128 v[111:114], off, off offset:96 th:TH_LOAD_LU ; 16-byte Folded Reload
	v_fma_f64 v[8:9], v[109:110], v[8:9], v[67:68]
	v_fma_f64 v[10:11], v[109:110], v[10:11], -v[69:70]
	s_wait_loadcnt_dscnt 0x8
	v_mul_f64_e32 v[73:74], v[113:114], v[6:7]
	v_mul_f64_e32 v[75:76], v[113:114], v[4:5]
	scratch_load_b128 v[113:116], off, off offset:112 th:TH_LOAD_LU ; 16-byte Folded Reload
	v_fma_f64 v[66:67], v[111:112], v[4:5], v[73:74]
	v_fma_f64 v[68:69], v[111:112], v[6:7], -v[75:76]
	v_add_co_u32 v4, vcc_lo, v64, s0
	s_wait_alu 0xfffd
	v_add_co_ci_u32_e32 v5, vcc_lo, s1, v65, vcc_lo
	v_mul_f64_e32 v[6:7], s[2:3], v[10:11]
	s_delay_alu instid0(VALU_DEP_4)
	v_mul_f64_e32 v[10:11], s[2:3], v[68:69]
	s_wait_loadcnt_dscnt 0x7
	v_mul_f64_e32 v[77:78], v[115:116], v[18:19]
	v_mul_f64_e32 v[79:80], v[115:116], v[16:17]
	scratch_load_b128 v[115:118], off, off offset:136 th:TH_LOAD_LU ; 16-byte Folded Reload
	v_fma_f64 v[16:17], v[113:114], v[16:17], v[77:78]
	v_fma_f64 v[18:19], v[113:114], v[18:19], -v[79:80]
	s_wait_loadcnt_dscnt 0x6
	v_mul_f64_e32 v[81:82], v[117:118], v[22:23]
	v_mul_f64_e32 v[83:84], v[117:118], v[20:21]
	scratch_load_b128 v[117:120], off, off offset:152 th:TH_LOAD_LU ; 16-byte Folded Reload
	v_fma_f64 v[20:21], v[115:116], v[20:21], v[81:82]
	v_fma_f64 v[22:23], v[115:116], v[22:23], -v[83:84]
	;; [unrolled: 6-line block ×6, first 2 shown]
	s_wait_loadcnt_dscnt 0x1
	v_mul_f64_e32 v[99:100], v[127:128], v[42:43]
	v_mul_f64_e32 v[101:102], v[127:128], v[40:41]
	scratch_load_b128 v[127:130], off, off offset:328 th:TH_LOAD_LU ; 16-byte Folded Reload
	s_clause 0x2
	global_store_b128 v[71:72], v[12:15], off
	global_store_b128 v[62:63], v[44:47], off
	;; [unrolled: 1-line block ×4, first 2 shown]
	v_mul_f64_e32 v[12:13], s[2:3], v[16:17]
	v_mul_f64_e32 v[14:15], s[2:3], v[18:19]
	;; [unrolled: 1-line block ×12, first 2 shown]
	v_fma_f64 v[40:41], v[125:126], v[40:41], v[99:100]
	v_fma_f64 v[42:43], v[125:126], v[42:43], -v[101:102]
	s_delay_alu instid0(VALU_DEP_2) | instskip(NEXT) | instid1(VALU_DEP_2)
	v_mul_f64_e32 v[36:37], s[2:3], v[40:41]
	v_mul_f64_e32 v[38:39], s[2:3], v[42:43]
	s_wait_loadcnt_dscnt 0x0
	v_mul_f64_e32 v[103:104], v[129:130], v[50:51]
	v_mul_f64_e32 v[105:106], v[129:130], v[48:49]
	s_delay_alu instid0(VALU_DEP_2) | instskip(NEXT) | instid1(VALU_DEP_2)
	v_fma_f64 v[44:45], v[127:128], v[48:49], v[103:104]
	v_fma_f64 v[46:47], v[127:128], v[50:51], -v[105:106]
	v_add_co_u32 v48, vcc_lo, v4, s0
	s_wait_alu 0xfffd
	v_add_co_ci_u32_e32 v49, vcc_lo, s1, v5, vcc_lo
	v_mul_f64_e32 v[4:5], s[2:3], v[8:9]
	s_delay_alu instid0(VALU_DEP_3) | instskip(SKIP_1) | instid1(VALU_DEP_3)
	v_add_co_u32 v50, vcc_lo, v48, s0
	s_wait_alu 0xfffd
	v_add_co_ci_u32_e32 v51, vcc_lo, s1, v49, vcc_lo
	v_mul_f64_e32 v[8:9], s[2:3], v[66:67]
	s_delay_alu instid0(VALU_DEP_3) | instskip(SKIP_1) | instid1(VALU_DEP_3)
	v_add_co_u32 v52, vcc_lo, v50, s0
	s_wait_alu 0xfffd
	v_add_co_ci_u32_e32 v53, vcc_lo, s1, v51, vcc_lo
	global_store_b128 v[48:49], v[0:3], off
	v_add_co_u32 v54, vcc_lo, v52, s0
	s_wait_alu 0xfffd
	v_add_co_ci_u32_e32 v55, vcc_lo, s1, v53, vcc_lo
	v_mul_f64_e32 v[40:41], s[2:3], v[44:45]
	v_mul_f64_e32 v[42:43], s[2:3], v[46:47]
	v_add_co_u32 v44, vcc_lo, v54, s0
	s_wait_alu 0xfffd
	v_add_co_ci_u32_e32 v45, vcc_lo, s1, v55, vcc_lo
	global_store_b128 v[50:51], v[4:7], off
	v_add_co_u32 v0, vcc_lo, v44, s0
	s_wait_alu 0xfffd
	v_add_co_ci_u32_e32 v1, vcc_lo, s1, v45, vcc_lo
	global_store_b128 v[52:53], v[8:11], off
	;; [unrolled: 4-line block ×5, first 2 shown]
	v_add_co_u32 v8, vcc_lo, v6, s0
	s_wait_alu 0xfffd
	v_add_co_ci_u32_e32 v9, vcc_lo, s1, v7, vcc_lo
	s_delay_alu instid0(VALU_DEP_2) | instskip(SKIP_1) | instid1(VALU_DEP_2)
	v_add_co_u32 v0, vcc_lo, v8, s0
	s_wait_alu 0xfffd
	v_add_co_ci_u32_e32 v1, vcc_lo, s1, v9, vcc_lo
	global_store_b128 v[2:3], v[24:27], off
	global_store_b128 v[4:5], v[28:31], off
	;; [unrolled: 1-line block ×5, first 2 shown]
.LBB0_10:
	s_nop 0
	s_sendmsg sendmsg(MSG_DEALLOC_VGPRS)
	s_endpgm
	.section	.rodata,"a",@progbits
	.p2align	6, 0x0
	.amdhsa_kernel bluestein_single_fwd_len2023_dim1_dp_op_CI_CI
		.amdhsa_group_segment_fixed_size 32368
		.amdhsa_private_segment_fixed_size 508
		.amdhsa_kernarg_size 104
		.amdhsa_user_sgpr_count 2
		.amdhsa_user_sgpr_dispatch_ptr 0
		.amdhsa_user_sgpr_queue_ptr 0
		.amdhsa_user_sgpr_kernarg_segment_ptr 1
		.amdhsa_user_sgpr_dispatch_id 0
		.amdhsa_user_sgpr_private_segment_size 0
		.amdhsa_wavefront_size32 1
		.amdhsa_uses_dynamic_stack 0
		.amdhsa_enable_private_segment 1
		.amdhsa_system_sgpr_workgroup_id_x 1
		.amdhsa_system_sgpr_workgroup_id_y 0
		.amdhsa_system_sgpr_workgroup_id_z 0
		.amdhsa_system_sgpr_workgroup_info 0
		.amdhsa_system_vgpr_workitem_id 0
		.amdhsa_next_free_vgpr 256
		.amdhsa_next_free_sgpr 58
		.amdhsa_reserve_vcc 1
		.amdhsa_float_round_mode_32 0
		.amdhsa_float_round_mode_16_64 0
		.amdhsa_float_denorm_mode_32 3
		.amdhsa_float_denorm_mode_16_64 3
		.amdhsa_fp16_overflow 0
		.amdhsa_workgroup_processor_mode 1
		.amdhsa_memory_ordered 1
		.amdhsa_forward_progress 0
		.amdhsa_round_robin_scheduling 0
		.amdhsa_exception_fp_ieee_invalid_op 0
		.amdhsa_exception_fp_denorm_src 0
		.amdhsa_exception_fp_ieee_div_zero 0
		.amdhsa_exception_fp_ieee_overflow 0
		.amdhsa_exception_fp_ieee_underflow 0
		.amdhsa_exception_fp_ieee_inexact 0
		.amdhsa_exception_int_div_zero 0
	.end_amdhsa_kernel
	.text
.Lfunc_end0:
	.size	bluestein_single_fwd_len2023_dim1_dp_op_CI_CI, .Lfunc_end0-bluestein_single_fwd_len2023_dim1_dp_op_CI_CI
                                        ; -- End function
	.section	.AMDGPU.csdata,"",@progbits
; Kernel info:
; codeLenInByte = 32396
; NumSgprs: 60
; NumVgprs: 256
; ScratchSize: 508
; MemoryBound: 0
; FloatMode: 240
; IeeeMode: 1
; LDSByteSize: 32368 bytes/workgroup (compile time only)
; SGPRBlocks: 7
; VGPRBlocks: 31
; NumSGPRsForWavesPerEU: 60
; NumVGPRsForWavesPerEU: 256
; Occupancy: 4
; WaveLimiterHint : 1
; COMPUTE_PGM_RSRC2:SCRATCH_EN: 1
; COMPUTE_PGM_RSRC2:USER_SGPR: 2
; COMPUTE_PGM_RSRC2:TRAP_HANDLER: 0
; COMPUTE_PGM_RSRC2:TGID_X_EN: 1
; COMPUTE_PGM_RSRC2:TGID_Y_EN: 0
; COMPUTE_PGM_RSRC2:TGID_Z_EN: 0
; COMPUTE_PGM_RSRC2:TIDIG_COMP_CNT: 0
	.text
	.p2alignl 7, 3214868480
	.fill 96, 4, 3214868480
	.type	__hip_cuid_2ee1853cdbc7f8c7,@object ; @__hip_cuid_2ee1853cdbc7f8c7
	.section	.bss,"aw",@nobits
	.globl	__hip_cuid_2ee1853cdbc7f8c7
__hip_cuid_2ee1853cdbc7f8c7:
	.byte	0                               ; 0x0
	.size	__hip_cuid_2ee1853cdbc7f8c7, 1

	.ident	"AMD clang version 19.0.0git (https://github.com/RadeonOpenCompute/llvm-project roc-6.4.0 25133 c7fe45cf4b819c5991fe208aaa96edf142730f1d)"
	.section	".note.GNU-stack","",@progbits
	.addrsig
	.addrsig_sym __hip_cuid_2ee1853cdbc7f8c7
	.amdgpu_metadata
---
amdhsa.kernels:
  - .args:
      - .actual_access:  read_only
        .address_space:  global
        .offset:         0
        .size:           8
        .value_kind:     global_buffer
      - .actual_access:  read_only
        .address_space:  global
        .offset:         8
        .size:           8
        .value_kind:     global_buffer
      - .actual_access:  read_only
        .address_space:  global
        .offset:         16
        .size:           8
        .value_kind:     global_buffer
      - .actual_access:  read_only
        .address_space:  global
        .offset:         24
        .size:           8
        .value_kind:     global_buffer
      - .actual_access:  read_only
        .address_space:  global
        .offset:         32
        .size:           8
        .value_kind:     global_buffer
      - .offset:         40
        .size:           8
        .value_kind:     by_value
      - .address_space:  global
        .offset:         48
        .size:           8
        .value_kind:     global_buffer
      - .address_space:  global
        .offset:         56
        .size:           8
        .value_kind:     global_buffer
      - .address_space:  global
        .offset:         64
        .size:           8
        .value_kind:     global_buffer
      - .address_space:  global
        .offset:         72
        .size:           8
        .value_kind:     global_buffer
      - .offset:         80
        .size:           4
        .value_kind:     by_value
      - .address_space:  global
        .offset:         88
        .size:           8
        .value_kind:     global_buffer
      - .address_space:  global
        .offset:         96
        .size:           8
        .value_kind:     global_buffer
    .group_segment_fixed_size: 32368
    .kernarg_segment_align: 8
    .kernarg_segment_size: 104
    .language:       OpenCL C
    .language_version:
      - 2
      - 0
    .max_flat_workgroup_size: 119
    .name:           bluestein_single_fwd_len2023_dim1_dp_op_CI_CI
    .private_segment_fixed_size: 508
    .sgpr_count:     60
    .sgpr_spill_count: 0
    .symbol:         bluestein_single_fwd_len2023_dim1_dp_op_CI_CI.kd
    .uniform_work_group_size: 1
    .uses_dynamic_stack: false
    .vgpr_count:     256
    .vgpr_spill_count: 164
    .wavefront_size: 32
    .workgroup_processor_mode: 1
amdhsa.target:   amdgcn-amd-amdhsa--gfx1201
amdhsa.version:
  - 1
  - 2
...

	.end_amdgpu_metadata
